;; amdgpu-corpus repo=ROCm/rocFFT kind=compiled arch=gfx906 opt=O3
	.text
	.amdgcn_target "amdgcn-amd-amdhsa--gfx906"
	.amdhsa_code_object_version 6
	.protected	bluestein_single_fwd_len4704_dim1_sp_op_CI_CI ; -- Begin function bluestein_single_fwd_len4704_dim1_sp_op_CI_CI
	.globl	bluestein_single_fwd_len4704_dim1_sp_op_CI_CI
	.p2align	8
	.type	bluestein_single_fwd_len4704_dim1_sp_op_CI_CI,@function
bluestein_single_fwd_len4704_dim1_sp_op_CI_CI: ; @bluestein_single_fwd_len4704_dim1_sp_op_CI_CI
; %bb.0:
	s_load_dwordx4 s[12:15], s[4:5], 0x28
	v_mul_u32_u24_e32 v1, 0x125, v0
	v_add_u32_sdwa v134, s6, v1 dst_sel:DWORD dst_unused:UNUSED_PAD src0_sel:DWORD src1_sel:WORD_1
	v_mov_b32_e32 v135, 0
	s_waitcnt lgkmcnt(0)
	v_cmp_gt_u64_e32 vcc, s[12:13], v[134:135]
	s_and_saveexec_b64 s[0:1], vcc
	s_cbranch_execz .LBB0_23
; %bb.1:
	s_load_dwordx4 s[0:3], s[4:5], 0x18
	s_load_dwordx2 s[16:17], s[4:5], 0x0
	s_waitcnt lgkmcnt(0)
	s_load_dwordx4 s[8:11], s[0:1], 0x0
	s_movk_i32 s0, 0xe0
	v_mul_lo_u16_sdwa v1, v1, s0 dst_sel:DWORD dst_unused:UNUSED_PAD src0_sel:WORD_1 src1_sel:DWORD
	v_sub_u16_e32 v154, v0, v1
	v_lshlrev_b32_e32 v153, 3, v154
	s_waitcnt lgkmcnt(0)
	v_mad_u64_u32 v[0:1], s[0:1], s10, v134, 0
	v_mad_u64_u32 v[2:3], s[0:1], s8, v154, 0
	v_add_co_u32_e64 v108, s[6:7], s16, v153
	v_mad_u64_u32 v[4:5], s[0:1], s11, v134, v[1:2]
	global_load_dwordx2 v[141:142], v153, s[16:17]
	v_mad_u64_u32 v[5:6], s[0:1], s9, v154, v[3:4]
	v_mov_b32_e32 v1, v4
	v_lshlrev_b64 v[0:1], 3, v[0:1]
	v_mov_b32_e32 v6, s15
	v_mov_b32_e32 v3, v5
	v_add_co_u32_e32 v4, vcc, s14, v0
	v_addc_co_u32_e32 v5, vcc, v6, v1, vcc
	v_lshlrev_b64 v[0:1], 3, v[2:3]
	s_mul_i32 s0, s9, 0x24c
	s_mul_hi_u32 s1, s8, 0x24c
	v_add_co_u32_e32 v0, vcc, v4, v0
	v_mov_b32_e32 v2, s17
	s_add_i32 s1, s1, s0
	s_mul_i32 s0, s8, 0x24c
	v_addc_co_u32_e32 v1, vcc, v5, v1, vcc
	v_addc_co_u32_e64 v109, vcc, 0, v2, s[6:7]
	s_lshl_b64 s[14:15], s[0:1], 3
	v_mov_b32_e32 v46, s15
	v_add_co_u32_e32 v2, vcc, s14, v0
	v_addc_co_u32_e32 v3, vcc, v1, v46, vcc
	s_movk_i32 s0, 0x1000
	v_add_co_u32_e32 v10, vcc, s0, v108
	v_addc_co_u32_e32 v11, vcc, 0, v109, vcc
	global_load_dwordx2 v[14:15], v[0:1], off
	global_load_dwordx2 v[16:17], v[2:3], off
	v_add_co_u32_e32 v2, vcc, s14, v2
	v_addc_co_u32_e32 v3, vcc, v3, v46, vcc
	s_movk_i32 s0, 0x2000
	v_add_co_u32_e32 v0, vcc, s0, v108
	v_addc_co_u32_e32 v1, vcc, 0, v109, vcc
	v_add_co_u32_e32 v4, vcc, s14, v2
	v_addc_co_u32_e32 v5, vcc, v3, v46, vcc
	s_movk_i32 s0, 0x3000
	global_load_dwordx2 v[18:19], v[2:3], off
	global_load_dwordx2 v[20:21], v[4:5], off
	v_add_co_u32_e32 v2, vcc, s0, v108
	v_addc_co_u32_e32 v3, vcc, 0, v109, vcc
	v_add_co_u32_e32 v4, vcc, s14, v4
	v_addc_co_u32_e32 v5, vcc, v5, v46, vcc
	s_movk_i32 s0, 0x4000
	v_add_co_u32_e32 v6, vcc, s0, v108
	v_addc_co_u32_e32 v7, vcc, 0, v109, vcc
	global_load_dwordx2 v[22:23], v[4:5], off
	v_add_co_u32_e32 v4, vcc, s14, v4
	v_addc_co_u32_e32 v5, vcc, v5, v46, vcc
	s_movk_i32 s0, 0x5000
	v_add_co_u32_e32 v8, vcc, s0, v108
	global_load_dwordx2 v[139:140], v[10:11], off offset:608
	v_addc_co_u32_e32 v9, vcc, 0, v109, vcc
	global_load_dwordx2 v[130:131], v[8:9], off offset:3040
	v_add_co_u32_e32 v12, vcc, s14, v4
	global_load_dwordx2 v[137:138], v[0:1], off offset:1216
	v_addc_co_u32_e32 v13, vcc, v5, v46, vcc
	s_movk_i32 s0, 0x6000
	global_load_dwordx2 v[24:25], v[4:5], off
	v_add_co_u32_e32 v4, vcc, s0, v108
	global_load_dwordx2 v[135:136], v[2:3], off offset:1824
	v_addc_co_u32_e32 v5, vcc, 0, v109, vcc
	global_load_dwordx2 v[26:27], v[12:13], off
	v_add_co_u32_e32 v12, vcc, s14, v12
	global_load_dwordx2 v[132:133], v[6:7], off offset:2432
	v_addc_co_u32_e32 v13, vcc, v13, v46, vcc
	s_mov_b32 s0, 0x8000
	s_mul_hi_u32 s1, s8, 0xfffff0cc
	v_add_co_u32_e32 v30, vcc, s0, v108
	s_mul_i32 s0, s9, 0xfffff0cc
	s_sub_i32 s1, s1, s8
	s_add_i32 s1, s1, s0
	s_mul_i32 s0, s8, 0xfffff0cc
	v_addc_co_u32_e32 v31, vcc, 0, v109, vcc
	s_lshl_b64 s[18:19], s[0:1], 3
	global_load_dwordx2 v[128:129], v[4:5], off offset:3648
	global_load_dwordx2 v[28:29], v[12:13], off
	v_mov_b32_e32 v32, s19
	v_add_co_u32_e32 v12, vcc, s18, v12
	v_addc_co_u32_e32 v13, vcc, v13, v32, vcc
	global_load_dwordx2 v[124:125], v[30:31], off offset:160
	global_load_dwordx2 v[32:33], v[12:13], off
	global_load_dwordx2 v[126:127], v153, s[16:17] offset:1792
	v_add_co_u32_e32 v12, vcc, s14, v12
	v_addc_co_u32_e32 v13, vcc, v13, v46, vcc
	global_load_dwordx2 v[34:35], v[12:13], off
	global_load_dwordx2 v[122:123], v[10:11], off offset:2400
	v_add_co_u32_e32 v10, vcc, s14, v12
	v_addc_co_u32_e32 v11, vcc, v13, v46, vcc
	global_load_dwordx2 v[36:37], v[10:11], off
	global_load_dwordx2 v[120:121], v[0:1], off offset:3008
	;; [unrolled: 4-line block ×4, first 2 shown]
	v_add_co_u32_e32 v10, vcc, s14, v10
	v_addc_co_u32_e32 v11, vcc, v11, v46, vcc
	v_add_co_u32_e32 v12, vcc, s14, v10
	v_addc_co_u32_e32 v13, vcc, v11, v46, vcc
	s_movk_i32 s0, 0x7000
	global_load_dwordx2 v[42:43], v[10:11], off
	global_load_dwordx2 v[114:115], v[4:5], off offset:736
	v_add_co_u32_e32 v10, vcc, s0, v108
	v_addc_co_u32_e32 v11, vcc, 0, v109, vcc
	global_load_dwordx2 v[44:45], v[12:13], off
	global_load_dwordx2 v[112:113], v[10:11], off offset:1344
	v_add_co_u32_e32 v12, vcc, s14, v12
	v_addc_co_u32_e32 v13, vcc, v13, v46, vcc
	global_load_dwordx2 v[46:47], v[12:13], off
	global_load_dwordx2 v[110:111], v[30:31], off offset:1952
	s_waitcnt vmcnt(30)
	v_mul_f32_e32 v30, v15, v142
	v_fmac_f32_e32 v30, v14, v141
	v_mul_f32_e32 v14, v14, v142
	v_fma_f32 v31, v15, v141, -v14
	s_waitcnt vmcnt(25)
	v_mul_f32_e32 v14, v17, v140
	v_mul_f32_e32 v15, v16, v140
	v_fmac_f32_e32 v14, v16, v139
	v_fma_f32 v15, v17, v139, -v15
	s_load_dwordx2 s[12:13], s[4:5], 0x38
	s_load_dwordx4 s[8:11], s[2:3], 0x0
	ds_write_b64 v153, v[14:15] offset:4704
	s_waitcnt vmcnt(23)
	v_mul_f32_e32 v14, v19, v138
	v_mul_f32_e32 v15, v18, v138
	v_fmac_f32_e32 v14, v18, v137
	v_fma_f32 v15, v19, v137, -v15
	ds_write_b64 v153, v[14:15] offset:9408
	s_waitcnt vmcnt(21)
	v_mul_f32_e32 v14, v21, v136
	v_mul_f32_e32 v15, v20, v136
	v_fmac_f32_e32 v14, v20, v135
	v_fma_f32 v15, v21, v135, -v15
	;; [unrolled: 6-line block ×3, first 2 shown]
	ds_write_b64 v153, v[14:15] offset:18816
	v_mul_f32_e32 v14, v25, v131
	v_mul_f32_e32 v15, v24, v131
	v_fmac_f32_e32 v14, v24, v130
	v_fma_f32 v15, v25, v130, -v15
	ds_write_b64 v153, v[14:15] offset:23520
	s_waitcnt vmcnt(18)
	v_mul_f32_e32 v14, v27, v129
	v_mul_f32_e32 v15, v26, v129
	v_fmac_f32_e32 v14, v26, v128
	v_fma_f32 v15, v27, v128, -v15
	ds_write_b64 v153, v[14:15] offset:28224
	s_movk_i32 s0, 0x8c
	v_cmp_gt_u16_e64 s[0:1], s0, v154
	s_waitcnt vmcnt(16)
	v_mul_f32_e32 v14, v29, v125
	v_mul_f32_e32 v15, v28, v125
	v_fmac_f32_e32 v14, v28, v124
	v_fma_f32 v15, v29, v124, -v15
	ds_write_b64 v153, v[14:15] offset:32928
	s_waitcnt vmcnt(14)
	v_mul_f32_e32 v14, v33, v127
	v_mul_f32_e32 v15, v32, v127
	v_fmac_f32_e32 v14, v32, v126
	v_fma_f32 v15, v33, v126, -v15
	ds_write2_b64 v153, v[30:31], v[14:15] offset1:224
	s_waitcnt vmcnt(12)
	v_mul_f32_e32 v14, v35, v123
	v_mul_f32_e32 v15, v34, v123
	v_fmac_f32_e32 v14, v34, v122
	v_fma_f32 v15, v35, v122, -v15
	ds_write_b64 v153, v[14:15] offset:6496
	s_waitcnt vmcnt(10)
	v_mul_f32_e32 v14, v37, v121
	v_mul_f32_e32 v15, v36, v121
	v_fmac_f32_e32 v14, v36, v120
	v_fma_f32 v15, v37, v120, -v15
	ds_write_b64 v153, v[14:15] offset:11200
	;; [unrolled: 6-line block ×7, first 2 shown]
	s_and_saveexec_b64 s[2:3], s[0:1]
	s_cbranch_execz .LBB0_3
; %bb.2:
	v_mov_b32_e32 v14, s19
	v_add_co_u32_e32 v12, vcc, s18, v12
	v_addc_co_u32_e32 v13, vcc, v13, v14, vcc
	global_load_dwordx2 v[14:15], v[12:13], off
	global_load_dwordx2 v[16:17], v[108:109], off offset:3584
	v_mov_b32_e32 v34, s15
	v_add_co_u32_e32 v12, vcc, s14, v12
	v_addc_co_u32_e32 v13, vcc, v13, v34, vcc
	global_load_dwordx2 v[18:19], v[12:13], off
	v_add_co_u32_e32 v12, vcc, s14, v12
	v_addc_co_u32_e32 v13, vcc, v13, v34, vcc
	global_load_dwordx2 v[20:21], v[12:13], off
	;; [unrolled: 3-line block ×3, first 2 shown]
	global_load_dwordx2 v[24:25], v[0:1], off offset:96
	global_load_dwordx2 v[26:27], v[2:3], off offset:704
	;; [unrolled: 1-line block ×3, first 2 shown]
	v_add_co_u32_e32 v0, vcc, s14, v12
	v_addc_co_u32_e32 v1, vcc, v13, v34, vcc
	global_load_dwordx2 v[2:3], v[0:1], off
	global_load_dwordx2 v[6:7], v[8:9], off offset:1920
	v_add_co_u32_e32 v0, vcc, s14, v0
	v_addc_co_u32_e32 v1, vcc, v1, v34, vcc
	global_load_dwordx2 v[8:9], v[0:1], off
	v_add_co_u32_e32 v0, vcc, s14, v0
	v_addc_co_u32_e32 v1, vcc, v1, v34, vcc
	global_load_dwordx2 v[12:13], v[0:1], off
	global_load_dwordx2 v[30:31], v[4:5], off offset:2528
	global_load_dwordx2 v[32:33], v[10:11], off offset:3136
	v_add_co_u32_e32 v0, vcc, s14, v0
	v_addc_co_u32_e32 v1, vcc, v1, v34, vcc
	v_add_co_u32_e32 v4, vcc, 0x8000, v108
	v_addc_co_u32_e32 v5, vcc, 0, v109, vcc
	global_load_dwordx2 v[10:11], v[4:5], off offset:3744
	global_load_dwordx2 v[34:35], v[0:1], off
	s_waitcnt vmcnt(14)
	v_mul_f32_e32 v0, v15, v17
	v_mul_f32_e32 v1, v14, v17
	v_fmac_f32_e32 v0, v14, v16
	v_fma_f32 v1, v15, v16, -v1
	ds_write_b64 v153, v[0:1] offset:3584
	s_waitcnt vmcnt(10)
	v_mul_f32_e32 v4, v19, v25
	s_waitcnt vmcnt(9)
	v_mul_f32_e32 v0, v21, v27
	v_mul_f32_e32 v1, v20, v27
	v_fmac_f32_e32 v0, v20, v26
	v_fma_f32 v1, v21, v26, -v1
	ds_write_b64 v153, v[0:1] offset:12992
	v_mul_f32_e32 v5, v18, v25
	s_waitcnt vmcnt(6)
	v_mul_f32_e32 v0, v3, v7
	v_mul_f32_e32 v1, v2, v7
	v_fmac_f32_e32 v0, v2, v6
	v_fma_f32 v1, v3, v6, -v1
	ds_write_b64 v153, v[0:1] offset:22400
	v_fmac_f32_e32 v4, v18, v24
	v_fma_f32 v5, v19, v24, -v5
	ds_write_b64 v153, v[4:5] offset:8288
	v_mul_f32_e32 v4, v23, v29
	s_waitcnt vmcnt(3)
	v_mul_f32_e32 v2, v9, v31
	v_mul_f32_e32 v3, v8, v31
	s_waitcnt vmcnt(2)
	v_mul_f32_e32 v0, v13, v33
	v_mul_f32_e32 v1, v12, v33
	v_fmac_f32_e32 v2, v8, v30
	v_fma_f32 v3, v9, v30, -v3
	v_fmac_f32_e32 v0, v12, v32
	v_fma_f32 v1, v13, v32, -v1
	v_mul_f32_e32 v5, v22, v29
	ds_write_b64 v153, v[2:3] offset:27104
	s_waitcnt vmcnt(0)
	v_mul_f32_e32 v2, v35, v11
	ds_write_b64 v153, v[0:1] offset:31808
	v_mul_f32_e32 v0, v34, v11
	v_fmac_f32_e32 v4, v22, v28
	v_fma_f32 v5, v23, v28, -v5
	v_fmac_f32_e32 v2, v34, v10
	v_fma_f32 v3, v35, v10, -v0
	ds_write_b64 v153, v[4:5] offset:17696
	ds_write_b64 v153, v[2:3] offset:36512
.LBB0_3:
	s_or_b64 exec, exec, s[2:3]
	v_add_u32_e32 v8, 0x2400, v153
	v_add_u32_e32 v16, 0x4900, v153
	;; [unrolled: 1-line block ×3, first 2 shown]
	s_waitcnt lgkmcnt(0)
	s_barrier
	v_add_u32_e32 v0, 0x1200, v153
	ds_read2_b64 v[12:15], v8 offset0:24 offset1:248
	v_add_u32_e32 v8, 0x3700, v153
	ds_read2_b64 v[20:23], v16 offset0:16 offset1:240
	;; [unrolled: 2-line block ×3, first 2 shown]
	v_add_u32_e32 v24, 0x8000, v153
	ds_read2_b64 v[4:7], v153 offset1:224
	ds_read2_b64 v[0:3], v0 offset0:12 offset1:236
	ds_read2_b64 v[8:11], v8 offset0:4 offset1:228
	;; [unrolled: 1-line block ×4, first 2 shown]
                                        ; implicit-def: $vgpr38
                                        ; implicit-def: $vgpr42
                                        ; implicit-def: $vgpr40
                                        ; implicit-def: $vgpr44
                                        ; implicit-def: $vgpr32
                                        ; implicit-def: $vgpr36
                                        ; implicit-def: $vgpr34
                                        ; implicit-def: $vgpr46
	s_and_saveexec_b64 s[2:3], s[0:1]
	s_cbranch_execz .LBB0_5
; %bb.4:
	ds_read_b64 v[34:35], v153 offset:8288
	ds_read_b64 v[36:37], v153 offset:12992
	;; [unrolled: 1-line block ×8, first 2 shown]
.LBB0_5:
	s_or_b64 exec, exec, s[2:3]
	s_waitcnt lgkmcnt(4)
	v_sub_f32_e32 v20, v4, v20
	v_sub_f32_e32 v28, v12, v28
	s_waitcnt lgkmcnt(1)
	v_sub_f32_e32 v16, v0, v16
	s_waitcnt lgkmcnt(0)
	v_sub_f32_e32 v24, v8, v24
	v_sub_f32_e32 v21, v5, v21
	v_fma_f32 v4, v4, 2.0, -v20
	v_sub_f32_e32 v29, v13, v29
	v_fma_f32 v12, v12, 2.0, -v28
	v_sub_f32_e32 v17, v1, v17
	v_fma_f32 v0, v0, 2.0, -v16
	v_sub_f32_e32 v25, v9, v25
	v_fma_f32 v8, v8, 2.0, -v24
	v_fma_f32 v5, v5, 2.0, -v21
	v_fma_f32 v13, v13, 2.0, -v29
	;; [unrolled: 1-line block ×4, first 2 shown]
	v_sub_f32_e32 v12, v4, v12
	v_sub_f32_e32 v8, v0, v8
	;; [unrolled: 1-line block ×3, first 2 shown]
	v_fma_f32 v4, v4, 2.0, -v12
	v_sub_f32_e32 v9, v1, v9
	v_fma_f32 v0, v0, 2.0, -v8
	v_fma_f32 v5, v5, 2.0, -v13
	;; [unrolled: 1-line block ×3, first 2 shown]
	v_sub_f32_e32 v48, v4, v0
	v_sub_f32_e32 v0, v6, v22
	;; [unrolled: 1-line block ×3, first 2 shown]
	v_fma_f32 v54, v4, 2.0, -v48
	v_sub_f32_e32 v58, v12, v9
	v_sub_f32_e32 v1, v7, v23
	v_fma_f32 v4, v6, 2.0, -v0
	v_sub_f32_e32 v6, v14, v30
	v_sub_f32_e32 v29, v20, v29
	v_add_f32_e32 v28, v21, v28
	v_fma_f32 v55, v5, 2.0, -v49
	v_add_f32_e32 v59, v13, v8
	v_fma_f32 v62, v12, 2.0, -v58
	v_fma_f32 v5, v7, 2.0, -v1
	v_sub_f32_e32 v7, v15, v31
	v_fma_f32 v8, v14, 2.0, -v6
	v_sub_f32_e32 v12, v2, v18
	v_sub_f32_e32 v14, v10, v26
	v_fma_f32 v20, v20, 2.0, -v29
	v_fma_f32 v21, v21, 2.0, -v28
	v_sub_f32_e32 v25, v16, v25
	v_add_f32_e32 v24, v17, v24
	v_fma_f32 v63, v13, 2.0, -v59
	v_fma_f32 v9, v15, 2.0, -v7
	v_sub_f32_e32 v13, v3, v19
	v_fma_f32 v2, v2, 2.0, -v12
	v_sub_f32_e32 v15, v11, v27
	;; [unrolled: 2-line block ×3, first 2 shown]
	v_fma_f32 v16, v16, 2.0, -v25
	v_fma_f32 v17, v17, 2.0, -v24
	v_mov_b32_e32 v50, v20
	v_mov_b32_e32 v51, v21
	;; [unrolled: 1-line block ×4, first 2 shown]
	v_fma_f32 v3, v3, 2.0, -v13
	v_fma_f32 v11, v11, 2.0, -v15
	v_sub_f32_e32 v8, v4, v8
	v_add_f32_e32 v6, v1, v6
	v_sub_f32_e32 v10, v2, v10
	v_sub_f32_e32 v15, v12, v15
	v_mov_b32_e32 v26, v7
	v_fmac_f32_e32 v50, 0xbf3504f3, v16
	v_fmac_f32_e32 v51, 0xbf3504f3, v17
	;; [unrolled: 1-line block ×4, first 2 shown]
	v_sub_f32_e32 v9, v5, v9
	v_fma_f32 v4, v4, 2.0, -v8
	v_fma_f32 v0, v0, 2.0, -v7
	v_sub_f32_e32 v11, v3, v11
	v_fma_f32 v2, v2, 2.0, -v10
	v_add_f32_e32 v14, v13, v14
	v_fmac_f32_e32 v26, 0x3f3504f3, v15
	v_mov_b32_e32 v27, v6
	v_fmac_f32_e32 v50, 0xbf3504f3, v17
	v_fmac_f32_e32 v51, 0x3f3504f3, v16
	;; [unrolled: 1-line block ×4, first 2 shown]
	v_fma_f32 v5, v5, 2.0, -v9
	v_fma_f32 v1, v1, 2.0, -v6
	;; [unrolled: 1-line block ×4, first 2 shown]
	v_sub_f32_e32 v16, v4, v2
	v_mov_b32_e32 v18, v0
	v_sub_f32_e32 v24, v8, v11
	v_add_f32_e32 v25, v9, v10
	v_fmac_f32_e32 v27, 0x3f3504f3, v14
	v_fmac_f32_e32 v26, 0xbf3504f3, v14
	v_fma_f32 v56, v20, 2.0, -v50
	v_fma_f32 v64, v29, 2.0, -v60
	;; [unrolled: 1-line block ×4, first 2 shown]
	v_sub_f32_e32 v17, v5, v3
	v_fma_f32 v20, v4, 2.0, -v16
	v_fmac_f32_e32 v18, 0xbf3504f3, v12
	v_mov_b32_e32 v19, v1
	v_fma_f32 v28, v8, 2.0, -v24
	v_fma_f32 v29, v9, 2.0, -v25
	v_fmac_f32_e32 v27, 0x3f3504f3, v15
	v_fma_f32 v30, v7, 2.0, -v26
	v_sub_f32_e32 v4, v46, v44
	v_sub_f32_e32 v7, v37, v43
	;; [unrolled: 1-line block ×4, first 2 shown]
	v_fma_f32 v57, v21, 2.0, -v51
	v_fma_f32 v21, v5, 2.0, -v17
	v_fmac_f32_e32 v19, 0xbf3504f3, v13
	v_fmac_f32_e32 v18, 0xbf3504f3, v13
	v_fma_f32 v31, v6, 2.0, -v27
	v_sub_f32_e32 v5, v47, v45
	v_sub_f32_e32 v6, v36, v42
	v_fma_f32 v10, v34, 2.0, -v8
	v_fma_f32 v11, v35, 2.0, -v9
	v_sub_f32_e32 v34, v32, v38
	v_sub_f32_e32 v35, v33, v39
	;; [unrolled: 1-line block ×3, first 2 shown]
	s_load_dwordx2 s[4:5], s[4:5], 0x8
	v_fmac_f32_e32 v19, 0x3f3504f3, v12
	v_fma_f32 v32, v32, 2.0, -v34
	v_fma_f32 v33, v33, 2.0, -v35
	v_add_f32_e32 v15, v6, v5
	v_fma_f32 v12, v4, 2.0, -v13
	v_sub_f32_e32 v35, v8, v35
	s_movk_i32 s2, 0xe0
	v_fma_f32 v22, v0, 2.0, -v18
	v_fma_f32 v23, v1, 2.0, -v19
	;; [unrolled: 1-line block ×7, first 2 shown]
	v_sub_f32_e32 v32, v10, v32
	v_sub_f32_e32 v33, v11, v33
	v_add_f32_e32 v34, v34, v9
	v_fma_f32 v8, v8, 2.0, -v35
	v_mov_b32_e32 v6, v12
	v_add_co_u32_e32 v53, vcc, s2, v154
	s_movk_i32 s2, 0x1c0
	v_sub_f32_e32 v1, v0, v1
	v_sub_f32_e32 v3, v2, v3
	v_fma_f32 v4, v10, 2.0, -v32
	v_fma_f32 v5, v11, 2.0, -v33
	v_fma_f32 v9, v9, 2.0, -v34
	v_fmac_f32_e32 v6, 0xbf3504f3, v8
	v_mov_b32_e32 v7, v14
	v_mov_b32_e32 v10, v13
	;; [unrolled: 1-line block ×3, first 2 shown]
	v_add_co_u32_e32 v52, vcc, s2, v154
	v_fma_f32 v0, v0, 2.0, -v1
	v_fma_f32 v2, v2, 2.0, -v3
	v_fmac_f32_e32 v7, 0xbf3504f3, v9
	v_fmac_f32_e32 v6, 0xbf3504f3, v9
	v_add_f32_e32 v9, v32, v3
	v_fmac_f32_e32 v10, 0x3f3504f3, v35
	v_fmac_f32_e32 v11, 0x3f3504f3, v34
	v_lshlrev_b16_e32 v32, 3, v154
	v_sub_f32_e32 v4, v0, v4
	v_sub_f32_e32 v5, v2, v5
	v_fmac_f32_e32 v7, 0x3f3504f3, v8
	v_sub_f32_e32 v8, v1, v33
	v_fmac_f32_e32 v10, 0xbf3504f3, v34
	v_fmac_f32_e32 v11, 0x3f3504f3, v35
	v_lshlrev_b32_e32 v157, 3, v32
	v_lshlrev_b32_e32 v158, 6, v53
	;; [unrolled: 1-line block ×3, first 2 shown]
	s_waitcnt lgkmcnt(0)
	s_barrier
	ds_write_b128 v157, v[54:57]
	ds_write_b128 v157, v[62:65] offset:16
	ds_write_b128 v157, v[48:51] offset:32
	;; [unrolled: 1-line block ×3, first 2 shown]
	ds_write_b128 v158, v[20:23]
	ds_write_b128 v158, v[28:31] offset:16
	ds_write_b128 v158, v[16:19] offset:32
	;; [unrolled: 1-line block ×3, first 2 shown]
	s_and_saveexec_b64 s[2:3], s[0:1]
	s_cbranch_execz .LBB0_7
; %bb.6:
	v_fma_f32 v22, v14, 2.0, -v7
	v_fma_f32 v21, v12, 2.0, -v6
	;; [unrolled: 1-line block ×8, first 2 shown]
	ds_write_b128 v156, v[19:22]
	ds_write_b128 v156, v[15:18] offset:16
	ds_write_b128 v156, v[4:7] offset:32
	;; [unrolled: 1-line block ×3, first 2 shown]
.LBB0_7:
	s_or_b64 exec, exec, s[2:3]
	v_add_u32_e32 v0, 0x2400, v153
	s_waitcnt lgkmcnt(0)
	s_barrier
	ds_read2_b64 v[20:23], v0 offset0:24 offset1:248
	v_add_u32_e32 v0, 0x4900, v153
	ds_read2_b64 v[24:27], v0 offset0:16 offset1:240
	v_add_u32_e32 v0, 0x6e00, v153
	;; [unrolled: 2-line block ×3, first 2 shown]
	ds_read2_b64 v[12:15], v0 offset1:224
	v_add_u32_e32 v0, 0x3200, v153
	ds_read2_b64 v[28:31], v0 offset0:24 offset1:248
	v_add_u32_e32 v0, 0x5700, v153
	ds_read2_b64 v[36:39], v0 offset0:16 offset1:240
	v_add_u32_e32 v0, 0x7c00, v153
	ds_read2_b64 v[16:19], v153 offset1:224
	ds_read2_b64 v[40:43], v0 offset0:8 offset1:232
	ds_read_b64 v[50:51], v153 offset:16576
	ds_read_b64 v[46:47], v153 offset:25984
	;; [unrolled: 1-line block ×4, first 2 shown]
	v_cmp_gt_u16_e64 s[2:3], 56, v154
	s_and_saveexec_b64 s[14:15], s[2:3]
	s_cbranch_execz .LBB0_9
; %bb.8:
	ds_read_b64 v[6:7], v153 offset:18368
	ds_read_b64 v[8:9], v153 offset:27776
	;; [unrolled: 1-line block ×4, first 2 shown]
.LBB0_9:
	s_or_b64 exec, exec, s[14:15]
	v_and_b32_e32 v155, 7, v154
	v_mad_u64_u32 v[54:55], s[14:15], v155, 24, s[4:5]
	s_movk_i32 s14, 0x380
	v_add_co_u32_e32 v56, vcc, s14, v154
	global_load_dwordx4 v[0:3], v[54:55], off
	global_load_dwordx2 v[143:144], v[54:55], off offset:16
	s_movk_i32 s14, 0x3e0
	s_waitcnt vmcnt(0) lgkmcnt(0)
	s_barrier
	v_add_co_u32_e32 v54, vcc, 0x2a0, v154
	s_movk_i32 s15, 0x460
	v_add_co_u32_e32 v60, vcc, s15, v154
	v_lshlrev_b32_e32 v159, 2, v60
	v_mul_f32_e32 v55, v21, v1
	v_mul_f32_e32 v57, v20, v1
	;; [unrolled: 1-line block ×18, first 2 shown]
	v_fma_f32 v20, v20, v0, -v55
	v_fmac_f32_e32 v57, v21, v0
	v_fma_f32 v21, v24, v2, -v58
	v_fmac_f32_e32 v59, v25, v2
	v_fma_f32 v24, v32, v143, -v61
	v_mul_f32_e32 v62, v32, v144
	v_mul_f32_e32 v63, v23, v1
	;; [unrolled: 1-line block ×7, first 2 shown]
	v_fmac_f32_e32 v64, v23, v0
	v_fma_f32 v23, v26, v2, -v65
	v_fma_f32 v26, v28, v0, -v69
	v_fmac_f32_e32 v70, v29, v0
	v_fma_f32 v28, v40, v143, -v73
	v_fmac_f32_e32 v78, v39, v2
	;; [unrolled: 2-line block ×3, first 2 shown]
	v_fma_f32 v40, v48, v143, -v85
	v_fma_f32 v46, v6, v0, -v87
	;; [unrolled: 1-line block ×4, first 2 shown]
	v_fmac_f32_e32 v92, v11, v143
	v_sub_f32_e32 v29, v17, v59
	v_sub_f32_e32 v11, v20, v24
	v_mul_f32_e32 v68, v34, v144
	v_mul_f32_e32 v71, v37, v3
	;; [unrolled: 1-line block ×5, first 2 shown]
	v_fmac_f32_e32 v62, v33, v143
	v_fma_f32 v22, v22, v0, -v63
	v_fmac_f32_e32 v66, v27, v2
	v_fma_f32 v25, v34, v143, -v67
	v_fma_f32 v6, v20, 2.0, -v11
	v_add_f32_e32 v11, v29, v11
	v_sub_f32_e32 v47, v4, v47
	v_sub_f32_e32 v48, v46, v48
	v_mul_f32_e32 v75, v31, v1
	v_mul_f32_e32 v76, v30, v1
	v_fmac_f32_e32 v68, v35, v143
	v_fma_f32 v27, v36, v2, -v71
	v_fmac_f32_e32 v72, v37, v2
	v_fmac_f32_e32 v74, v41, v143
	;; [unrolled: 1-line block ×3, first 2 shown]
	v_sub_f32_e32 v21, v16, v21
	v_fma_f32 v9, v17, 2.0, -v29
	v_sub_f32_e32 v10, v57, v62
	v_fma_f32 v17, v29, 2.0, -v11
	v_sub_f32_e32 v24, v18, v23
	v_sub_f32_e32 v29, v19, v66
	;; [unrolled: 1-line block ×3, first 2 shown]
	v_fma_f32 v4, v4, 2.0, -v47
	v_fma_f32 v46, v46, 2.0, -v48
	v_mul_f32_e32 v79, v43, v144
	v_mul_f32_e32 v80, v42, v144
	v_fma_f32 v32, v30, v0, -v75
	v_fmac_f32_e32 v76, v31, v0
	v_fmac_f32_e32 v88, v7, v0
	v_fma_f32 v8, v16, 2.0, -v21
	v_fma_f32 v7, v57, 2.0, -v10
	v_sub_f32_e32 v10, v21, v10
	v_fma_f32 v20, v18, 2.0, -v24
	v_sub_f32_e32 v25, v64, v68
	v_fma_f32 v18, v22, 2.0, -v23
	v_add_f32_e32 v23, v29, v23
	v_sub_f32_e32 v30, v12, v27
	v_sub_f32_e32 v31, v13, v72
	;; [unrolled: 1-line block ×5, first 2 shown]
	v_lshlrev_b32_e32 v46, 2, v154
	v_fma_f32 v33, v38, v2, -v77
	v_fma_f32 v34, v42, v143, -v79
	v_fmac_f32_e32 v80, v43, v143
	v_sub_f32_e32 v6, v8, v6
	v_sub_f32_e32 v7, v9, v7
	v_fma_f32 v16, v21, 2.0, -v10
	v_fma_f32 v21, v19, 2.0, -v29
	;; [unrolled: 1-line block ×3, first 2 shown]
	v_sub_f32_e32 v22, v24, v25
	v_fma_f32 v25, v29, 2.0, -v23
	v_fma_f32 v27, v12, 2.0, -v30
	;; [unrolled: 1-line block ×5, first 2 shown]
	v_and_or_b32 v46, v46, s14, v155
	v_fma_f32 v8, v8, 2.0, -v6
	v_fma_f32 v9, v9, 2.0, -v7
	v_sub_f32_e32 v12, v27, v12
	v_sub_f32_e32 v13, v29, v13
	;; [unrolled: 1-line block ×6, first 2 shown]
	v_lshlrev_b32_e32 v160, 3, v46
	v_mul_f32_e32 v81, v51, v1
	v_mul_f32_e32 v82, v50, v1
	v_fma_f32 v26, v27, 2.0, -v12
	v_fma_f32 v27, v29, 2.0, -v13
	v_add_f32_e32 v29, v31, v35
	v_fma_f32 v33, v14, 2.0, -v36
	v_fma_f32 v35, v15, 2.0, -v37
	;; [unrolled: 1-line block ×4, first 2 shown]
	ds_write2_b64 v160, v[8:9], v[16:17] offset1:8
	ds_write2_b64 v160, v[6:7], v[10:11] offset0:16 offset1:24
	v_lshlrev_b32_e32 v6, 2, v53
	s_movk_i32 s14, 0x7e0
	v_fma_f32 v38, v50, v0, -v81
	v_fmac_f32_e32 v82, v51, v0
	v_fmac_f32_e32 v86, v49, v143
	v_sub_f32_e32 v14, v33, v14
	v_sub_f32_e32 v15, v35, v15
	;; [unrolled: 1-line block ×3, first 2 shown]
	v_and_or_b32 v6, v6, s14, v155
	v_fma_f32 v32, v33, 2.0, -v14
	v_fma_f32 v33, v35, 2.0, -v15
	v_add_f32_e32 v35, v37, v41
	v_sub_f32_e32 v50, v45, v84
	v_fma_f32 v41, v44, 2.0, -v49
	v_sub_f32_e32 v43, v38, v40
	v_sub_f32_e32 v44, v82, v86
	v_lshlrev_b32_e32 v161, 3, v6
	v_lshlrev_b32_e32 v6, 2, v52
	s_movk_i32 s14, 0xfe0
	v_fma_f32 v42, v45, 2.0, -v50
	v_fma_f32 v38, v38, 2.0, -v43
	;; [unrolled: 1-line block ×3, first 2 shown]
	v_and_or_b32 v6, v6, s14, v155
	v_sub_f32_e32 v38, v41, v38
	v_sub_f32_e32 v39, v42, v39
	v_lshlrev_b32_e32 v162, 3, v6
	v_lshlrev_b32_e32 v6, 2, v54
	v_fma_f32 v40, v41, 2.0, -v38
	v_fma_f32 v41, v42, 2.0, -v39
	v_sub_f32_e32 v42, v49, v44
	v_add_f32_e32 v43, v50, v43
	v_and_or_b32 v6, v6, s14, v155
	v_fma_f32 v44, v49, 2.0, -v42
	v_fma_f32 v45, v50, 2.0, -v43
	v_sub_f32_e32 v49, v5, v90
	v_sub_f32_e32 v50, v88, v92
	v_lshlrev_b32_e32 v163, 3, v6
	v_lshlrev_b32_e32 v6, 2, v56
	s_movk_i32 s14, 0x1fe0
	v_sub_f32_e32 v18, v20, v18
	v_sub_f32_e32 v19, v21, v19
	v_sub_f32_e32 v28, v30, v28
	v_sub_f32_e32 v34, v36, v34
	v_fma_f32 v5, v5, 2.0, -v49
	v_fma_f32 v51, v88, 2.0, -v50
	v_sub_f32_e32 v145, v47, v50
	v_add_f32_e32 v146, v49, v48
	v_and_or_b32 v6, v6, s14, v155
	v_fma_f32 v20, v20, 2.0, -v18
	v_fma_f32 v21, v21, 2.0, -v19
	v_fma_f32 v24, v24, 2.0, -v22
	v_fma_f32 v30, v30, 2.0, -v28
	v_fma_f32 v31, v31, 2.0, -v29
	v_fma_f32 v36, v36, 2.0, -v34
	v_fma_f32 v37, v37, 2.0, -v35
	v_sub_f32_e32 v148, v5, v51
	v_fma_f32 v106, v47, 2.0, -v145
	v_fma_f32 v107, v49, 2.0, -v146
	v_lshlrev_b32_e32 v164, 3, v6
	ds_write2_b64 v161, v[20:21], v[24:25] offset1:8
	ds_write2_b64 v161, v[18:19], v[22:23] offset0:16 offset1:24
	ds_write2_b64 v162, v[26:27], v[30:31] offset1:8
	ds_write2_b64 v162, v[12:13], v[28:29] offset0:16 offset1:24
	;; [unrolled: 2-line block ×4, first 2 shown]
	s_and_saveexec_b64 s[14:15], s[2:3]
	s_cbranch_execz .LBB0_11
; %bb.10:
	s_movk_i32 s16, 0x13e0
	v_and_or_b32 v6, v159, s16, v155
	v_fma_f32 v5, v5, 2.0, -v148
	v_fma_f32 v4, v4, 2.0, -v147
	v_lshlrev_b32_e32 v6, 3, v6
	ds_write2_b64 v6, v[4:5], v[106:107] offset1:8
	ds_write2_b64 v6, v[147:148], v[145:146] offset0:16 offset1:24
.LBB0_11:
	s_or_b64 exec, exec, s[14:15]
	v_and_b32_e32 v55, 31, v154
	v_mad_u64_u32 v[16:17], s[14:15], v55, 48, s[4:5]
	s_waitcnt lgkmcnt(0)
	s_barrier
	global_load_dwordx4 v[12:15], v[16:17], off offset:192
	global_load_dwordx4 v[8:11], v[16:17], off offset:208
	global_load_dwordx4 v[4:7], v[16:17], off offset:224
	ds_read2_b64 v[16:19], v153 offset1:224
	v_add_u32_e32 v80, 0xe00, v153
	v_add_u32_e32 v68, 0x2a00, v153
	;; [unrolled: 1-line block ×9, first 2 shown]
	ds_read_b64 v[57:58], v153 offset:35840
	ds_read2_b64 v[20:23], v80 offset1:224
	ds_read2_b64 v[24:27], v68 offset1:224
	;; [unrolled: 1-line block ×9, first 2 shown]
	s_mov_b32 s14, 0x3f5ff5aa
	s_mov_b32 s16, 0x3f3bfb3b
	;; [unrolled: 1-line block ×4, first 2 shown]
	s_waitcnt vmcnt(0) lgkmcnt(0)
	s_barrier
	s_movk_i32 s19, 0xe0
	v_lshlrev_b32_e32 v56, 4, v56
	v_lshlrev_b32_e32 v60, 4, v60
	v_mul_f32_e32 v87, v27, v15
	v_mul_f32_e32 v71, v30, v9
	;; [unrolled: 1-line block ×9, first 2 shown]
	v_fmac_f32_e32 v75, v39, v4
	v_fma_f32 v39, v26, v14, -v87
	v_mul_f32_e32 v26, v37, v11
	v_mul_f32_e32 v59, v23, v13
	;; [unrolled: 1-line block ×6, first 2 shown]
	v_fmac_f32_e32 v71, v31, v8
	v_fma_f32 v31, v40, v6, -v83
	v_fma_f32 v40, v48, v8, -v89
	v_fmac_f32_e32 v90, v49, v8
	v_fma_f32 v48, v50, v8, -v101
	v_mul_f32_e32 v49, v50, v9
	v_fma_f32 v50, v36, v10, -v26
	v_mul_f32_e32 v26, v64, v5
	v_mul_f32_e32 v67, v24, v15
	;; [unrolled: 1-line block ×5, first 2 shown]
	v_fma_f32 v22, v22, v12, -v59
	v_fmac_f32_e32 v65, v23, v12
	v_fma_f32 v23, v24, v14, -v66
	v_fma_f32 v24, v30, v8, -v70
	v_fma_f32 v30, v38, v4, -v74
	v_fma_f32 v59, v63, v4, -v26
	v_mul_f32_e32 v26, v58, v7
	v_mul_f32_e32 v73, v32, v11
	;; [unrolled: 1-line block ×4, first 2 shown]
	v_fmac_f32_e32 v67, v25, v14
	v_fma_f32 v25, v32, v10, -v72
	v_fmac_f32_e32 v84, v41, v6
	v_fmac_f32_e32 v94, v62, v4
	;; [unrolled: 1-line block ×3, first 2 shown]
	v_fma_f32 v62, v57, v6, -v26
	v_add_f32_e32 v26, v22, v31
	v_add_f32_e32 v29, v23, v30
	v_mul_f32_e32 v95, v43, v7
	v_fmac_f32_e32 v73, v33, v10
	v_fmac_f32_e32 v88, v27, v14
	;; [unrolled: 1-line block ×3, first 2 shown]
	v_mul_f32_e32 v51, v36, v11
	v_add_f32_e32 v27, v65, v84
	v_sub_f32_e32 v22, v22, v31
	v_add_f32_e32 v31, v67, v75
	v_add_f32_e32 v32, v24, v25
	v_add_f32_e32 v36, v29, v26
	v_mul_f32_e32 v92, v34, v11
	v_mul_f32_e32 v96, v42, v7
	v_fma_f32 v41, v42, v6, -v95
	v_fmac_f32_e32 v51, v37, v10
	v_add_f32_e32 v33, v71, v73
	v_add_f32_e32 v37, v31, v27
	v_sub_f32_e32 v42, v29, v26
	v_sub_f32_e32 v26, v26, v32
	;; [unrolled: 1-line block ×3, first 2 shown]
	v_add_f32_e32 v32, v32, v36
	v_mul_f32_e32 v85, v45, v13
	v_mul_f32_e32 v91, v35, v11
	;; [unrolled: 1-line block ×3, first 2 shown]
	v_fmac_f32_e32 v92, v35, v10
	v_fma_f32 v35, v61, v4, -v93
	v_fmac_f32_e32 v96, v43, v6
	v_mul_f32_e32 v61, v63, v5
	v_mul_f32_e32 v57, v57, v7
	v_sub_f32_e32 v23, v23, v30
	v_sub_f32_e32 v24, v25, v24
	;; [unrolled: 1-line block ×5, first 2 shown]
	v_add_f32_e32 v33, v33, v37
	v_add_f32_e32 v16, v16, v32
	v_mul_f32_e32 v86, v44, v13
	v_mul_f32_e32 v97, v47, v13
	v_fma_f32 v38, v44, v12, -v85
	v_fmac_f32_e32 v98, v47, v12
	v_fma_f32 v47, v28, v14, -v99
	v_fmac_f32_e32 v61, v64, v4
	v_fmac_f32_e32 v57, v58, v6
	v_sub_f32_e32 v28, v65, v84
	v_sub_f32_e32 v30, v67, v75
	;; [unrolled: 1-line block ×3, first 2 shown]
	v_add_f32_e32 v44, v24, v23
	v_sub_f32_e32 v58, v24, v23
	v_sub_f32_e32 v23, v23, v22
	v_add_f32_e32 v17, v17, v33
	v_mov_b32_e32 v64, v16
	v_fmac_f32_e32 v86, v45, v12
	v_add_f32_e32 v45, v25, v30
	v_sub_f32_e32 v63, v25, v30
	v_sub_f32_e32 v24, v22, v24
	;; [unrolled: 1-line block ×3, first 2 shown]
	v_add_f32_e32 v22, v44, v22
	v_mul_f32_e32 v26, 0x3f4a47b2, v26
	v_mul_f32_e32 v27, 0x3f4a47b2, v27
	;; [unrolled: 1-line block ×6, first 2 shown]
	v_fmac_f32_e32 v64, 0xbf955555, v32
	v_mov_b32_e32 v32, v17
	v_sub_f32_e32 v25, v28, v25
	v_add_f32_e32 v28, v45, v28
	v_mul_f32_e32 v45, 0xbf08b237, v63
	v_mul_f32_e32 v63, 0x3f5ff5aa, v30
	v_fmac_f32_e32 v32, 0xbf955555, v33
	v_fma_f32 v33, v42, s16, -v36
	v_fma_f32 v36, v43, s16, -v37
	;; [unrolled: 1-line block ×3, first 2 shown]
	v_fmac_f32_e32 v26, 0x3d64c772, v29
	v_fma_f32 v29, v43, s15, -v27
	v_fmac_f32_e32 v27, 0x3d64c772, v31
	v_fma_f32 v31, v23, s14, -v44
	v_fma_f32 v42, v24, s18, -v58
	v_fmac_f32_e32 v44, 0x3eae86e6, v24
	v_fma_f32 v30, v30, s14, -v45
	v_fmac_f32_e32 v45, 0x3eae86e6, v25
	v_fma_f32 v43, v25, s18, -v63
	v_add_f32_e32 v63, v27, v32
	v_add_f32_e32 v36, v36, v32
	;; [unrolled: 1-line block ×3, first 2 shown]
	v_fmac_f32_e32 v31, 0x3ee1c552, v22
	v_fmac_f32_e32 v42, 0x3ee1c552, v22
	v_fma_f32 v34, v34, v10, -v91
	v_add_f32_e32 v58, v26, v64
	v_add_f32_e32 v33, v33, v64
	;; [unrolled: 1-line block ×3, first 2 shown]
	v_fmac_f32_e32 v44, 0x3ee1c552, v22
	v_fmac_f32_e32 v45, 0x3ee1c552, v28
	;; [unrolled: 1-line block ×4, first 2 shown]
	v_sub_f32_e32 v25, v32, v42
	v_add_f32_e32 v27, v31, v36
	v_sub_f32_e32 v29, v36, v31
	v_add_f32_e32 v31, v42, v32
	v_add_f32_e32 v36, v38, v41
	;; [unrolled: 1-line block ×4, first 2 shown]
	v_sub_f32_e32 v23, v63, v44
	v_add_f32_e32 v24, v43, v37
	v_sub_f32_e32 v26, v33, v30
	v_add_f32_e32 v28, v30, v33
	v_sub_f32_e32 v30, v37, v43
	v_sub_f32_e32 v32, v58, v45
	v_add_f32_e32 v33, v44, v63
	v_add_f32_e32 v37, v86, v96
	;; [unrolled: 1-line block ×7, first 2 shown]
	v_sub_f32_e32 v64, v42, v36
	v_sub_f32_e32 v36, v36, v44
	;; [unrolled: 1-line block ×3, first 2 shown]
	v_add_f32_e32 v44, v44, v58
	v_sub_f32_e32 v38, v38, v41
	v_sub_f32_e32 v41, v86, v96
	;; [unrolled: 1-line block ×9, first 2 shown]
	v_add_f32_e32 v45, v45, v63
	v_add_f32_e32 v18, v18, v44
	;; [unrolled: 1-line block ×4, first 2 shown]
	v_sub_f32_e32 v70, v34, v35
	v_sub_f32_e32 v71, v40, v39
	;; [unrolled: 1-line block ×4, first 2 shown]
	v_add_f32_e32 v19, v19, v45
	v_mov_b32_e32 v72, v18
	v_sub_f32_e32 v34, v38, v34
	v_sub_f32_e32 v40, v41, v40
	v_add_f32_e32 v38, v66, v38
	v_add_f32_e32 v41, v67, v41
	v_mul_f32_e32 v36, 0x3f4a47b2, v36
	v_mul_f32_e32 v37, 0x3f4a47b2, v37
	;; [unrolled: 1-line block ×8, first 2 shown]
	v_fmac_f32_e32 v72, 0xbf955555, v44
	v_mov_b32_e32 v44, v19
	v_fmac_f32_e32 v44, 0xbf955555, v45
	v_fma_f32 v45, v64, s16, -v58
	v_fma_f32 v58, v65, s16, -v63
	;; [unrolled: 1-line block ×3, first 2 shown]
	v_fmac_f32_e32 v36, 0x3d64c772, v42
	v_fma_f32 v42, v65, s15, -v37
	v_fma_f32 v65, v34, s18, -v70
	;; [unrolled: 1-line block ×4, first 2 shown]
	v_fmac_f32_e32 v37, 0x3d64c772, v43
	v_fma_f32 v64, v39, s14, -v67
	v_fmac_f32_e32 v67, 0x3eae86e6, v40
	v_add_f32_e32 v40, v45, v72
	v_add_f32_e32 v45, v58, v44
	;; [unrolled: 1-line block ×3, first 2 shown]
	v_fmac_f32_e32 v70, 0x3ee1c552, v41
	v_fma_f32 v43, v35, s14, -v66
	v_fmac_f32_e32 v66, 0x3eae86e6, v34
	v_add_f32_e32 v71, v36, v72
	v_add_f32_e32 v73, v37, v44
	v_add_f32_e32 v44, v42, v44
	v_fmac_f32_e32 v64, 0x3ee1c552, v41
	v_add_f32_e32 v36, v70, v58
	v_sub_f32_e32 v42, v58, v70
	v_add_f32_e32 v58, v46, v62
	v_sub_f32_e32 v46, v46, v62
	v_add_f32_e32 v62, v47, v59
	v_fmac_f32_e32 v66, 0x3ee1c552, v38
	v_fmac_f32_e32 v43, 0x3ee1c552, v38
	;; [unrolled: 1-line block ×3, first 2 shown]
	v_sub_f32_e32 v38, v40, v64
	v_add_f32_e32 v40, v64, v40
	v_add_f32_e32 v63, v98, v57
	;; [unrolled: 1-line block ×3, first 2 shown]
	v_sub_f32_e32 v47, v47, v59
	v_sub_f32_e32 v59, v100, v61
	v_add_f32_e32 v61, v48, v50
	v_sub_f32_e32 v48, v50, v48
	v_add_f32_e32 v50, v62, v58
	v_fmac_f32_e32 v67, 0x3ee1c552, v41
	v_sub_f32_e32 v37, v44, v65
	v_add_f32_e32 v39, v43, v45
	v_sub_f32_e32 v41, v45, v43
	v_add_f32_e32 v43, v65, v44
	v_add_f32_e32 v65, v49, v51
	v_sub_f32_e32 v49, v51, v49
	v_add_f32_e32 v51, v64, v63
	v_add_f32_e32 v50, v61, v50
	;; [unrolled: 1-line block ×5, first 2 shown]
	v_sub_f32_e32 v35, v73, v66
	v_sub_f32_e32 v44, v71, v67
	v_add_f32_e32 v45, v66, v73
	v_sub_f32_e32 v57, v98, v57
	v_sub_f32_e32 v66, v62, v58
	;; [unrolled: 1-line block ×7, first 2 shown]
	v_add_f32_e32 v71, v49, v59
	v_sub_f32_e32 v73, v49, v59
	v_add_f32_e32 v21, v21, v51
	v_mov_b32_e32 v74, v20
	v_add_f32_e32 v70, v48, v47
	v_sub_f32_e32 v72, v48, v47
	v_sub_f32_e32 v49, v57, v49
	;; [unrolled: 1-line block ×4, first 2 shown]
	v_add_f32_e32 v57, v71, v57
	v_mul_f32_e32 v58, 0x3f4a47b2, v58
	v_mul_f32_e32 v61, 0x3f4a47b2, v63
	;; [unrolled: 1-line block ×5, first 2 shown]
	v_fmac_f32_e32 v74, 0xbf955555, v50
	v_mov_b32_e32 v50, v21
	v_sub_f32_e32 v48, v46, v48
	v_add_f32_e32 v46, v70, v46
	v_mul_f32_e32 v70, 0xbf08b237, v72
	v_mul_f32_e32 v72, 0x3f5ff5aa, v47
	v_mul_f32_e32 v73, 0x3f5ff5aa, v59
	v_fmac_f32_e32 v50, 0xbf955555, v51
	v_fma_f32 v51, v66, s16, -v63
	v_fma_f32 v63, v67, s16, -v65
	;; [unrolled: 1-line block ×3, first 2 shown]
	v_fmac_f32_e32 v58, 0x3d64c772, v62
	v_fma_f32 v59, v59, s14, -v71
	v_fma_f32 v62, v67, s15, -v61
	v_fmac_f32_e32 v61, 0x3d64c772, v64
	v_fmac_f32_e32 v71, 0x3eae86e6, v49
	v_fma_f32 v66, v48, s18, -v72
	v_fma_f32 v67, v49, s18, -v73
	v_add_f32_e32 v72, v58, v74
	v_add_f32_e32 v58, v51, v74
	v_fmac_f32_e32 v59, 0x3ee1c552, v57
	v_add_f32_e32 v73, v61, v50
	v_add_f32_e32 v61, v63, v50
	;; [unrolled: 1-line block ×3, first 2 shown]
	v_fmac_f32_e32 v71, 0x3ee1c552, v57
	v_fmac_f32_e32 v67, 0x3ee1c552, v57
	v_sub_f32_e32 v50, v58, v59
	v_add_f32_e32 v57, v59, v58
	v_lshrrev_b32_e32 v59, 5, v154
	v_mul_u32_u24_e32 v59, 0xe0, v59
	v_or_b32_e32 v59, v59, v55
	v_lshlrev_b32_e32 v165, 3, v59
	ds_write2_b64 v165, v[16:17], v[22:23] offset1:32
	ds_write2_b64 v165, v[24:25], v[26:27] offset0:64 offset1:96
	ds_write2_b64 v165, v[28:29], v[30:31] offset0:128 offset1:160
	ds_write_b64 v165, v[32:33] offset:1536
	v_lshrrev_b32_e32 v16, 5, v53
	v_mul_u32_u24_e32 v16, 0xe0, v16
	v_or_b32_e32 v16, v16, v55
	v_lshlrev_b32_e32 v166, 3, v16
	v_lshrrev_b32_e32 v16, 5, v52
	v_mad_u64_u32 v[28:29], s[20:21], v154, 48, s[4:5]
	v_fma_f32 v64, v47, s14, -v70
	v_fmac_f32_e32 v70, 0x3eae86e6, v48
	v_mul_u32_u24_e32 v16, 0xe0, v16
	v_fmac_f32_e32 v70, 0x3ee1c552, v46
	v_or_b32_e32 v16, v16, v55
	v_add_f32_e32 v63, v65, v74
	v_fmac_f32_e32 v64, 0x3ee1c552, v46
	v_fmac_f32_e32 v66, 0x3ee1c552, v46
	v_add_f32_e32 v46, v71, v72
	v_sub_f32_e32 v47, v73, v70
	v_lshlrev_b32_e32 v167, 3, v16
	v_add_f32_e32 v48, v67, v63
	v_sub_f32_e32 v49, v62, v66
	v_add_f32_e32 v51, v64, v61
	v_sub_f32_e32 v58, v61, v64
	v_sub_f32_e32 v61, v63, v67
	v_add_f32_e32 v62, v66, v62
	v_sub_f32_e32 v63, v72, v71
	v_add_f32_e32 v64, v70, v73
	ds_write2_b64 v166, v[18:19], v[34:35] offset1:32
	ds_write2_b64 v166, v[36:37], v[38:39] offset0:64 offset1:96
	ds_write2_b64 v166, v[40:41], v[42:43] offset0:128 offset1:160
	ds_write_b64 v166, v[44:45] offset:1536
	ds_write2_b64 v167, v[20:21], v[46:47] offset1:32
	ds_write2_b64 v167, v[48:49], v[50:51] offset0:64 offset1:96
	ds_write2_b64 v167, v[57:58], v[61:62] offset0:128 offset1:160
	ds_write_b64 v167, v[63:64] offset:1536
	s_waitcnt lgkmcnt(0)
	s_barrier
	global_load_dwordx4 v[24:27], v[28:29], off offset:1728
	global_load_dwordx4 v[20:23], v[28:29], off offset:1744
	;; [unrolled: 1-line block ×3, first 2 shown]
	v_lshrrev_b16_e32 v28, 5, v52
	v_mul_u32_u24_e32 v28, 0x2493, v28
	v_mul_lo_u16_sdwa v28, v28, s19 dst_sel:DWORD dst_unused:UNUSED_PAD src0_sel:WORD_1 src1_sel:DWORD
	v_sub_u16_e32 v55, v52, v28
	v_mul_lo_u16_e32 v28, 48, v55
	v_mov_b32_e32 v64, s5
	v_add_co_u32_e32 v40, vcc, s4, v28
	v_addc_co_u32_e32 v41, vcc, 0, v64, vcc
	global_load_dwordx4 v[36:39], v[40:41], off offset:1728
	global_load_dwordx4 v[32:35], v[40:41], off offset:1744
	;; [unrolled: 1-line block ×3, first 2 shown]
	ds_read2_b64 v[40:43], v153 offset1:224
	ds_read2_b64 v[44:47], v80 offset1:224
	;; [unrolled: 1-line block ×10, first 2 shown]
	ds_read_b64 v[57:58], v153 offset:35840
	v_lshlrev_b32_e32 v168, 3, v55
	s_waitcnt vmcnt(0) lgkmcnt(0)
	s_barrier
	v_lshlrev_b32_e32 v65, 4, v154
	s_mov_b32 s5, 0xa000
	v_mul_f32_e32 v59, v47, v25
	v_fma_f32 v59, v46, v24, -v59
	v_mul_f32_e32 v46, v46, v25
	v_fmac_f32_e32 v46, v47, v24
	v_mul_f32_e32 v47, v49, v27
	v_mul_f32_e32 v62, v84, v23
	v_fma_f32 v47, v48, v26, -v47
	v_mul_f32_e32 v48, v48, v27
	v_fma_f32 v62, v83, v22, -v62
	v_mul_f32_e32 v63, v83, v23
	v_mul_f32_e32 v83, v51, v27
	v_fmac_f32_e32 v48, v49, v26
	v_mul_f32_e32 v49, v73, v21
	v_fmac_f32_e32 v63, v84, v22
	v_mul_f32_e32 v66, v90, v17
	v_fma_f32 v83, v50, v26, -v83
	v_mul_f32_e32 v84, v50, v27
	v_mul_f32_e32 v50, v100, v21
	v_fma_f32 v49, v72, v20, -v49
	v_mul_f32_e32 v61, v72, v21
	v_fma_f32 v66, v89, v16, -v66
	v_mul_f32_e32 v67, v89, v17
	v_mul_f32_e32 v72, v92, v19
	v_fma_f32 v89, v99, v20, -v50
	v_mul_f32_e32 v50, v86, v23
	v_fmac_f32_e32 v61, v73, v20
	v_fma_f32 v72, v91, v18, -v72
	v_mul_f32_e32 v73, v91, v19
	v_fma_f32 v91, v85, v22, -v50
	v_mul_f32_e32 v85, v85, v23
	v_mul_f32_e32 v50, v150, v17
	;; [unrolled: 1-line block ×3, first 2 shown]
	v_fmac_f32_e32 v85, v86, v22
	v_fma_f32 v86, v149, v16, -v50
	v_mul_f32_e32 v50, v94, v19
	v_fma_f32 v74, v95, v24, -v74
	v_mul_f32_e32 v75, v95, v25
	;; [unrolled: 2-line block ×3, first 2 shown]
	v_mul_f32_e32 v50, v98, v37
	v_fmac_f32_e32 v93, v94, v18
	v_fma_f32 v94, v97, v36, -v50
	v_mul_f32_e32 v50, v71, v39
	v_fmac_f32_e32 v75, v96, v24
	v_mul_f32_e32 v96, v97, v37
	v_fma_f32 v97, v70, v38, -v50
	v_mul_f32_e32 v50, v102, v33
	v_fmac_f32_e32 v67, v90, v16
	v_mul_f32_e32 v90, v99, v21
	;; [unrolled: 4-line block ×4, first 2 shown]
	v_fma_f32 v103, v151, v28, -v50
	v_mul_f32_e32 v50, v58, v31
	v_mul_f32_e32 v149, v57, v31
	v_fma_f32 v105, v57, v30, -v50
	v_fmac_f32_e32 v149, v58, v30
	v_add_f32_e32 v50, v59, v72
	v_add_f32_e32 v58, v47, v66
	v_fmac_f32_e32 v84, v51, v26
	v_add_f32_e32 v51, v46, v73
	v_sub_f32_e32 v57, v59, v72
	v_add_f32_e32 v59, v48, v67
	v_sub_f32_e32 v47, v47, v66
	;; [unrolled: 2-line block ×5, first 2 shown]
	v_add_f32_e32 v63, v59, v51
	v_add_f32_e32 v62, v66, v62
	v_fmac_f32_e32 v96, v98, v36
	v_mul_f32_e32 v98, v70, v39
	v_fmac_f32_e32 v100, v102, v32
	v_mul_f32_e32 v102, v87, v35
	v_sub_f32_e32 v46, v46, v73
	v_add_f32_e32 v63, v67, v63
	v_add_f32_e32 v40, v40, v62
	v_fmac_f32_e32 v92, v150, v16
	v_fmac_f32_e32 v98, v71, v38
	;; [unrolled: 1-line block ×3, first 2 shown]
	v_sub_f32_e32 v70, v58, v50
	v_sub_f32_e32 v71, v59, v51
	;; [unrolled: 1-line block ×6, first 2 shown]
	v_add_f32_e32 v72, v49, v47
	v_add_f32_e32 v73, v61, v48
	v_sub_f32_e32 v87, v49, v47
	v_sub_f32_e32 v88, v61, v48
	;; [unrolled: 1-line block ×3, first 2 shown]
	v_add_f32_e32 v41, v41, v63
	v_mov_b32_e32 v150, v40
	v_sub_f32_e32 v49, v57, v49
	v_sub_f32_e32 v61, v46, v61
	;; [unrolled: 1-line block ×3, first 2 shown]
	v_add_f32_e32 v57, v72, v57
	v_add_f32_e32 v46, v73, v46
	v_mul_f32_e32 v50, 0x3f4a47b2, v50
	v_mul_f32_e32 v51, 0x3f4a47b2, v51
	;; [unrolled: 1-line block ×7, first 2 shown]
	v_fmac_f32_e32 v150, 0xbf955555, v62
	v_mov_b32_e32 v62, v41
	v_fmac_f32_e32 v62, 0xbf955555, v63
	v_fma_f32 v63, v70, s16, -v66
	v_fma_f32 v66, v71, s16, -v67
	;; [unrolled: 1-line block ×3, first 2 shown]
	v_fmac_f32_e32 v50, 0x3d64c772, v58
	v_fma_f32 v58, v71, s15, -v51
	v_fmac_f32_e32 v51, 0x3d64c772, v59
	v_fma_f32 v59, v47, s14, -v72
	;; [unrolled: 2-line block ×4, first 2 shown]
	v_mul_f32_e32 v87, 0x3f5ff5aa, v47
	v_add_f32_e32 v88, v51, v62
	v_add_f32_e32 v66, v66, v62
	;; [unrolled: 1-line block ×3, first 2 shown]
	v_fmac_f32_e32 v72, 0x3ee1c552, v57
	v_fmac_f32_e32 v59, 0x3ee1c552, v57
	v_fmac_f32_e32 v61, 0x3ee1c552, v46
	v_fma_f32 v71, v49, s18, -v87
	v_add_f32_e32 v87, v50, v150
	v_add_f32_e32 v63, v63, v150
	;; [unrolled: 1-line block ×3, first 2 shown]
	v_fmac_f32_e32 v73, 0x3ee1c552, v46
	v_fmac_f32_e32 v70, 0x3ee1c552, v46
	v_sub_f32_e32 v47, v88, v72
	v_add_f32_e32 v48, v61, v67
	v_add_f32_e32 v51, v59, v66
	v_sub_f32_e32 v58, v66, v59
	v_sub_f32_e32 v61, v67, v61
	v_add_f32_e32 v67, v72, v88
	v_add_f32_e32 v59, v74, v95
	;; [unrolled: 1-line block ×3, first 2 shown]
	v_fmac_f32_e32 v71, 0x3ee1c552, v57
	v_add_f32_e32 v46, v73, v87
	v_sub_f32_e32 v50, v63, v70
	v_add_f32_e32 v57, v70, v63
	v_sub_f32_e32 v66, v87, v73
	;; [unrolled: 2-line block ×4, first 2 shown]
	v_add_f32_e32 v83, v89, v91
	v_add_f32_e32 v87, v72, v59
	v_sub_f32_e32 v49, v62, v71
	v_add_f32_e32 v62, v71, v62
	v_sub_f32_e32 v71, v75, v93
	v_sub_f32_e32 v75, v84, v92
	v_add_f32_e32 v84, v90, v85
	v_sub_f32_e32 v86, v91, v89
	v_add_f32_e32 v88, v73, v63
	v_sub_f32_e32 v89, v72, v59
	v_sub_f32_e32 v59, v59, v83
	;; [unrolled: 1-line block ×3, first 2 shown]
	v_add_f32_e32 v83, v83, v87
	v_sub_f32_e32 v85, v85, v90
	v_sub_f32_e32 v90, v73, v63
	;; [unrolled: 1-line block ×4, first 2 shown]
	v_add_f32_e32 v84, v84, v88
	v_add_f32_e32 v42, v42, v83
	;; [unrolled: 1-line block ×4, first 2 shown]
	v_sub_f32_e32 v93, v86, v74
	v_sub_f32_e32 v95, v85, v75
	;; [unrolled: 1-line block ×3, first 2 shown]
	v_add_f32_e32 v43, v43, v84
	v_mov_b32_e32 v150, v42
	v_sub_f32_e32 v86, v70, v86
	v_sub_f32_e32 v85, v71, v85
	;; [unrolled: 1-line block ×3, first 2 shown]
	v_add_f32_e32 v70, v91, v70
	v_add_f32_e32 v71, v92, v71
	v_mul_f32_e32 v59, 0x3f4a47b2, v59
	v_mul_f32_e32 v63, 0x3f4a47b2, v63
	;; [unrolled: 1-line block ×7, first 2 shown]
	v_fmac_f32_e32 v150, 0xbf955555, v83
	v_mov_b32_e32 v83, v43
	v_mul_f32_e32 v93, 0x3f5ff5aa, v74
	v_fmac_f32_e32 v83, 0xbf955555, v84
	v_fma_f32 v84, v89, s16, -v87
	v_fma_f32 v87, v90, s16, -v88
	;; [unrolled: 1-line block ×3, first 2 shown]
	v_fmac_f32_e32 v59, 0x3d64c772, v72
	v_fma_f32 v72, v90, s15, -v63
	v_fmac_f32_e32 v63, 0x3d64c772, v73
	v_fma_f32 v89, v74, s14, -v91
	v_fmac_f32_e32 v91, 0x3eae86e6, v86
	v_fma_f32 v90, v75, s14, -v92
	v_fmac_f32_e32 v92, 0x3eae86e6, v85
	v_fma_f32 v85, v85, s18, -v95
	v_mul_f32_e32 v104, v151, v29
	v_fma_f32 v86, v86, s18, -v93
	v_add_f32_e32 v59, v59, v150
	v_add_f32_e32 v63, v63, v83
	;; [unrolled: 1-line block ×5, first 2 shown]
	v_fmac_f32_e32 v91, 0x3ee1c552, v70
	v_fmac_f32_e32 v92, 0x3ee1c552, v71
	;; [unrolled: 1-line block ×6, first 2 shown]
	v_add_f32_e32 v93, v72, v83
	v_fmac_f32_e32 v86, 0x3ee1c552, v70
	v_add_f32_e32 v70, v92, v59
	v_sub_f32_e32 v71, v63, v91
	v_add_f32_e32 v72, v85, v88
	v_sub_f32_e32 v74, v84, v90
	v_add_f32_e32 v75, v89, v87
	v_add_f32_e32 v83, v90, v84
	v_sub_f32_e32 v84, v87, v89
	v_sub_f32_e32 v85, v88, v85
	;; [unrolled: 1-line block ×3, first 2 shown]
	v_add_f32_e32 v88, v91, v63
	v_add_f32_e32 v59, v94, v105
	;; [unrolled: 1-line block ×3, first 2 shown]
	v_sub_f32_e32 v73, v93, v86
	v_add_f32_e32 v86, v86, v93
	v_add_f32_e32 v63, v96, v149
	;; [unrolled: 1-line block ×3, first 2 shown]
	v_sub_f32_e32 v93, v97, v103
	v_add_f32_e32 v95, v99, v101
	v_sub_f32_e32 v97, v101, v99
	v_add_f32_e32 v99, v91, v59
	v_sub_f32_e32 v89, v94, v105
	v_sub_f32_e32 v90, v96, v149
	v_sub_f32_e32 v94, v98, v104
	v_add_f32_e32 v96, v100, v102
	v_sub_f32_e32 v98, v102, v100
	v_add_f32_e32 v100, v92, v63
	v_sub_f32_e32 v101, v91, v59
	v_sub_f32_e32 v59, v59, v95
	;; [unrolled: 1-line block ×3, first 2 shown]
	v_add_f32_e32 v95, v95, v99
	v_sub_f32_e32 v102, v92, v63
	v_sub_f32_e32 v63, v63, v96
	;; [unrolled: 1-line block ×3, first 2 shown]
	v_add_f32_e32 v96, v96, v100
	v_add_f32_e32 v44, v44, v95
	;; [unrolled: 1-line block ×4, first 2 shown]
	v_sub_f32_e32 v105, v97, v93
	v_sub_f32_e32 v149, v98, v94
	v_add_f32_e32 v45, v45, v96
	v_mov_b32_e32 v150, v44
	v_sub_f32_e32 v97, v89, v97
	v_sub_f32_e32 v98, v90, v98
	;; [unrolled: 1-line block ×4, first 2 shown]
	v_add_f32_e32 v89, v103, v89
	v_add_f32_e32 v90, v104, v90
	v_mul_f32_e32 v59, 0x3f4a47b2, v59
	v_mul_f32_e32 v63, 0x3f4a47b2, v63
	;; [unrolled: 1-line block ×6, first 2 shown]
	v_fmac_f32_e32 v150, 0xbf955555, v95
	v_mov_b32_e32 v95, v45
	v_mul_f32_e32 v105, 0x3f5ff5aa, v93
	v_mul_f32_e32 v149, 0x3f5ff5aa, v94
	v_fmac_f32_e32 v95, 0xbf955555, v96
	v_fma_f32 v96, v101, s16, -v99
	v_fma_f32 v99, v102, s16, -v100
	;; [unrolled: 1-line block ×3, first 2 shown]
	v_fmac_f32_e32 v59, 0x3d64c772, v91
	v_fma_f32 v91, v102, s15, -v63
	v_fmac_f32_e32 v63, 0x3d64c772, v92
	v_fma_f32 v101, v93, s14, -v103
	;; [unrolled: 2-line block ×4, first 2 shown]
	v_fma_f32 v97, v98, s18, -v149
	v_add_f32_e32 v59, v59, v150
	v_add_f32_e32 v63, v63, v95
	v_fmac_f32_e32 v103, 0x3ee1c552, v89
	v_fmac_f32_e32 v104, 0x3ee1c552, v90
	v_add_f32_e32 v96, v96, v150
	v_add_f32_e32 v98, v99, v95
	;; [unrolled: 1-line block ×4, first 2 shown]
	v_fmac_f32_e32 v101, 0x3ee1c552, v89
	v_fmac_f32_e32 v102, 0x3ee1c552, v90
	;; [unrolled: 1-line block ×4, first 2 shown]
	v_add_f32_e32 v89, v104, v59
	v_sub_f32_e32 v90, v63, v103
	ds_write2_b64 v153, v[40:41], v[46:47] offset1:224
	ds_write2_b64 v80, v[48:49], v[50:51] offset1:224
	;; [unrolled: 1-line block ×7, first 2 shown]
	v_add_u32_e32 v40, 0x6200, v168
	v_add_f32_e32 v91, v97, v99
	v_sub_f32_e32 v92, v100, v105
	v_sub_f32_e32 v93, v96, v102
	v_add_f32_e32 v94, v101, v98
	ds_write2_b64 v40, v[44:45], v[89:90] offset1:224
	v_add_u32_e32 v40, 0x7000, v168
	v_add_f32_e32 v95, v102, v96
	v_sub_f32_e32 v96, v98, v101
	v_sub_f32_e32 v97, v99, v97
	v_add_f32_e32 v98, v105, v100
	ds_write2_b64 v40, v[91:92], v[93:94] offset1:224
	v_add_u32_e32 v40, 0x7e00, v168
	v_sub_f32_e32 v99, v59, v104
	v_add_f32_e32 v100, v103, v63
	ds_write2_b64 v40, v[95:96], v[97:98] offset1:224
	ds_write_b64 v168, v[99:100] offset:35840
	v_add_co_u32_e32 v40, vcc, s4, v65
	v_addc_co_u32_e32 v41, vcc, 0, v64, vcc
	s_movk_i32 s14, 0x3000
	v_add_co_u32_e32 v40, vcc, s14, v40
	v_addc_co_u32_e32 v41, vcc, 0, v41, vcc
	v_lshlrev_b32_e32 v42, 4, v53
	v_add_co_u32_e32 v42, vcc, s4, v42
	v_addc_co_u32_e32 v43, vcc, 0, v64, vcc
	v_add_co_u32_e32 v42, vcc, s14, v42
	v_addc_co_u32_e32 v43, vcc, 0, v43, vcc
	v_lshlrev_b32_e32 v48, 4, v52
	v_add_co_u32_e32 v48, vcc, s4, v48
	v_addc_co_u32_e32 v49, vcc, 0, v64, vcc
	;; [unrolled: 5-line block ×3, first 2 shown]
	v_add_co_u32_e32 v52, vcc, s14, v52
	v_addc_co_u32_e32 v53, vcc, 0, v53, vcc
	v_add_co_u32_e32 v56, vcc, s4, v56
	s_waitcnt lgkmcnt(0)
	s_barrier
	global_load_dwordx4 v[44:47], v[40:41], off offset:192
	s_nop 0
	global_load_dwordx4 v[40:43], v[42:43], off offset:192
	v_addc_co_u32_e32 v57, vcc, 0, v64, vcc
	v_add_co_u32_e32 v56, vcc, s14, v56
	v_addc_co_u32_e32 v57, vcc, 0, v57, vcc
	global_load_dwordx4 v[48:51], v[48:49], off offset:192
	v_add_co_u32_e32 v60, vcc, s4, v60
	global_load_dwordx4 v[52:55], v[52:53], off offset:192
	v_addc_co_u32_e32 v61, vcc, 0, v64, vcc
	v_add_co_u32_e32 v60, vcc, s14, v60
	v_addc_co_u32_e32 v61, vcc, 0, v61, vcc
	v_add_u32_e32 v65, 0x5400, v65
	global_load_dwordx4 v[56:59], v[56:57], off offset:192
	v_add_co_u32_e32 v65, vcc, s4, v65
	global_load_dwordx4 v[60:63], v[60:61], off offset:192
	v_addc_co_u32_e32 v66, vcc, 0, v64, vcc
	v_add_co_u32_e32 v64, vcc, s14, v65
	v_addc_co_u32_e32 v65, vcc, 0, v66, vcc
	global_load_dwordx4 v[64:67], v[64:65], off offset:192
	v_mov_b32_e32 v70, s17
	v_addc_co_u32_e64 v105, vcc, 0, v70, s[6:7]
	ds_read2_b64 v[83:86], v153 offset1:224
	ds_read2_b64 v[72:75], v68 offset1:224
	ds_read2_b64 v[87:90], v69 offset1:224
	ds_read2_b64 v[91:94], v82 offset1:224
	ds_read2_b64 v[95:98], v80 offset1:224
	ds_read2_b64 v[99:102], v81 offset1:224
	ds_read2_b64 v[149:152], v79 offset1:224
	ds_read2_b64 v[68:71], v78 offset1:224
	ds_read2_b64 v[169:172], v77 offset1:224
	ds_read2_b64 v[173:176], v76 offset1:224
	ds_read_b64 v[103:104], v153 offset:35840
	s_mov_b32 s4, 0x9000
	s_movk_i32 s6, 0x7000
	s_waitcnt vmcnt(6) lgkmcnt(9)
	v_mul_f32_e32 v177, v75, v45
	v_fma_f32 v177, v74, v44, -v177
	v_mul_f32_e32 v178, v74, v45
	s_waitcnt lgkmcnt(8)
	v_mul_f32_e32 v74, v88, v47
	v_fma_f32 v179, v87, v46, -v74
	s_waitcnt vmcnt(5) lgkmcnt(7)
	v_mul_f32_e32 v74, v92, v41
	v_fma_f32 v181, v91, v40, -v74
	v_mul_f32_e32 v182, v91, v41
	v_mul_f32_e32 v74, v90, v43
	v_fmac_f32_e32 v182, v92, v40
	v_fma_f32 v92, v89, v42, -v74
	s_waitcnt vmcnt(4)
	v_mul_f32_e32 v74, v94, v49
	v_fma_f32 v184, v93, v48, -v74
	s_waitcnt lgkmcnt(5)
	v_mul_f32_e32 v74, v100, v51
	v_fma_f32 v186, v99, v50, -v74
	s_waitcnt vmcnt(3) lgkmcnt(4)
	v_mul_f32_e32 v74, v150, v53
	v_fma_f32 v188, v149, v52, -v74
	v_mul_f32_e32 v149, v149, v53
	v_mul_f32_e32 v74, v102, v55
	v_fmac_f32_e32 v149, v150, v52
	v_fma_f32 v150, v101, v54, -v74
	s_waitcnt vmcnt(2)
	v_mul_f32_e32 v74, v152, v57
	v_fma_f32 v190, v151, v56, -v74
	v_mul_f32_e32 v151, v151, v57
	s_waitcnt lgkmcnt(2)
	v_mul_f32_e32 v74, v170, v59
	v_fmac_f32_e32 v151, v152, v56
	v_fma_f32 v152, v169, v58, -v74
	s_waitcnt vmcnt(1) lgkmcnt(1)
	v_mul_f32_e32 v74, v174, v61
	v_fma_f32 v192, v173, v60, -v74
	v_mul_f32_e32 v74, v172, v63
	v_fma_f32 v194, v171, v62, -v74
	s_waitcnt vmcnt(0)
	v_mul_f32_e32 v74, v176, v65
	v_fmac_f32_e32 v178, v75, v44
	v_mul_f32_e32 v180, v87, v47
	v_fma_f32 v196, v175, v64, -v74
	s_waitcnt lgkmcnt(0)
	v_mul_f32_e32 v74, v104, v67
	v_add_f32_e32 v75, v177, v179
	v_fmac_f32_e32 v180, v88, v46
	v_fma_f32 v198, v103, v66, -v74
	v_add_f32_e32 v74, v83, v177
	v_fma_f32 v83, -0.5, v75, v83
	v_sub_f32_e32 v75, v178, v180
	v_mov_b32_e32 v87, v83
	v_add_f32_e32 v88, v178, v180
	v_mul_f32_e32 v183, v89, v43
	v_fmac_f32_e32 v87, 0x3f5db3d7, v75
	v_fmac_f32_e32 v83, 0xbf5db3d7, v75
	v_add_f32_e32 v75, v84, v178
	v_fma_f32 v84, -0.5, v88, v84
	v_fmac_f32_e32 v183, v90, v42
	v_sub_f32_e32 v89, v177, v179
	v_mov_b32_e32 v88, v84
	v_add_f32_e32 v90, v181, v92
	v_fmac_f32_e32 v88, 0xbf5db3d7, v89
	v_fmac_f32_e32 v84, 0x3f5db3d7, v89
	v_add_f32_e32 v89, v85, v181
	v_fma_f32 v85, -0.5, v90, v85
	v_mul_f32_e32 v185, v93, v49
	v_sub_f32_e32 v90, v182, v183
	v_mov_b32_e32 v91, v85
	v_add_f32_e32 v93, v182, v183
	v_fmac_f32_e32 v91, 0x3f5db3d7, v90
	v_fmac_f32_e32 v85, 0xbf5db3d7, v90
	v_add_f32_e32 v90, v86, v182
	v_fmac_f32_e32 v86, -0.5, v93
	v_fmac_f32_e32 v185, v94, v48
	v_mul_f32_e32 v187, v99, v51
	v_add_f32_e32 v89, v89, v92
	v_sub_f32_e32 v93, v181, v92
	v_mov_b32_e32 v92, v86
	v_add_f32_e32 v94, v184, v186
	v_fmac_f32_e32 v187, v100, v50
	v_fmac_f32_e32 v92, 0xbf5db3d7, v93
	;; [unrolled: 1-line block ×3, first 2 shown]
	v_add_f32_e32 v93, v95, v184
	v_fma_f32 v95, -0.5, v94, v95
	v_sub_f32_e32 v94, v185, v187
	v_mov_b32_e32 v99, v95
	v_add_f32_e32 v100, v185, v187
	v_mul_f32_e32 v189, v101, v55
	v_fmac_f32_e32 v99, 0x3f5db3d7, v94
	v_fmac_f32_e32 v95, 0xbf5db3d7, v94
	v_add_f32_e32 v94, v96, v185
	v_fma_f32 v96, -0.5, v100, v96
	v_fmac_f32_e32 v189, v102, v54
	v_sub_f32_e32 v101, v184, v186
	v_mov_b32_e32 v100, v96
	v_add_f32_e32 v102, v188, v150
	v_mul_f32_e32 v199, v103, v67
	v_fmac_f32_e32 v100, 0xbf5db3d7, v101
	v_fmac_f32_e32 v96, 0x3f5db3d7, v101
	v_add_f32_e32 v101, v97, v188
	v_fma_f32 v97, -0.5, v102, v97
	v_fmac_f32_e32 v199, v104, v66
	v_sub_f32_e32 v102, v149, v189
	v_mov_b32_e32 v103, v97
	v_add_f32_e32 v104, v149, v189
	v_fmac_f32_e32 v103, 0x3f5db3d7, v102
	v_fmac_f32_e32 v97, 0xbf5db3d7, v102
	v_add_f32_e32 v102, v98, v149
	v_fmac_f32_e32 v98, -0.5, v104
	v_sub_f32_e32 v149, v188, v150
	v_mov_b32_e32 v104, v98
	v_fmac_f32_e32 v104, 0xbf5db3d7, v149
	v_fmac_f32_e32 v98, 0x3f5db3d7, v149
	v_add_f32_e32 v149, v68, v190
	v_mul_f32_e32 v191, v169, v59
	v_add_f32_e32 v169, v149, v152
	v_add_f32_e32 v149, v190, v152
	v_fmac_f32_e32 v191, v170, v58
	v_mul_f32_e32 v195, v171, v63
	v_fma_f32 v171, -0.5, v149, v68
	v_mul_f32_e32 v193, v173, v61
	v_sub_f32_e32 v68, v151, v191
	v_mov_b32_e32 v173, v171
	v_fmac_f32_e32 v173, 0x3f5db3d7, v68
	v_fmac_f32_e32 v171, 0xbf5db3d7, v68
	v_add_f32_e32 v68, v69, v151
	v_add_f32_e32 v170, v68, v191
	;; [unrolled: 1-line block ×3, first 2 shown]
	v_fmac_f32_e32 v195, v172, v62
	v_fma_f32 v172, -0.5, v68, v69
	v_fmac_f32_e32 v193, v174, v60
	v_sub_f32_e32 v68, v190, v152
	v_mov_b32_e32 v174, v172
	v_fmac_f32_e32 v174, 0xbf5db3d7, v68
	v_fmac_f32_e32 v172, 0x3f5db3d7, v68
	v_add_f32_e32 v68, v70, v192
	v_mul_f32_e32 v197, v175, v65
	v_add_f32_e32 v175, v68, v194
	v_add_f32_e32 v68, v192, v194
	v_fma_f32 v70, -0.5, v68, v70
	v_sub_f32_e32 v68, v193, v195
	v_mov_b32_e32 v151, v70
	v_fmac_f32_e32 v151, 0x3f5db3d7, v68
	v_fmac_f32_e32 v70, 0xbf5db3d7, v68
	v_add_f32_e32 v68, v71, v193
	v_fmac_f32_e32 v197, v176, v64
	v_add_f32_e32 v176, v68, v195
	v_add_f32_e32 v68, v193, v195
	v_fmac_f32_e32 v71, -0.5, v68
	v_sub_f32_e32 v68, v192, v194
	v_mov_b32_e32 v152, v71
	v_fmac_f32_e32 v152, 0xbf5db3d7, v68
	v_fmac_f32_e32 v71, 0x3f5db3d7, v68
	v_add_f32_e32 v68, v72, v196
	v_add_f32_e32 v149, v68, v198
	;; [unrolled: 1-line block ×3, first 2 shown]
	v_fma_f32 v72, -0.5, v68, v72
	v_sub_f32_e32 v69, v197, v199
	v_mov_b32_e32 v68, v72
	v_fmac_f32_e32 v68, 0x3f5db3d7, v69
	v_fmac_f32_e32 v72, 0xbf5db3d7, v69
	v_add_f32_e32 v69, v73, v197
	v_add_f32_e32 v101, v101, v150
	;; [unrolled: 1-line block ×4, first 2 shown]
	v_fmac_f32_e32 v73, -0.5, v69
	v_add_f32_e32 v74, v74, v179
	v_sub_f32_e32 v177, v196, v198
	v_mov_b32_e32 v69, v73
	v_add_f32_e32 v75, v75, v180
	v_add_f32_e32 v90, v90, v183
	;; [unrolled: 1-line block ×5, first 2 shown]
	v_fmac_f32_e32 v69, 0xbf5db3d7, v177
	v_fmac_f32_e32 v73, 0x3f5db3d7, v177
	ds_write_b64 v153, v[87:88] offset:12544
	ds_write_b64 v153, v[83:84] offset:25088
	ds_write2_b64 v153, v[74:75], v[89:90] offset1:224
	ds_write_b64 v153, v[85:86] offset:26880
	ds_write2_b64 v82, v[91:92], v[99:100] offset1:224
	ds_write2_b64 v80, v[93:94], v[101:102] offset1:224
	;; [unrolled: 1-line block ×6, first 2 shown]
	ds_write_b64 v153, v[149:150] offset:10752
	ds_write2_b64 v76, v[151:152], v[68:69] offset1:224
	ds_write_b64 v153, v[72:73] offset:35840
	v_add_co_u32_e32 v74, vcc, s4, v108
	v_addc_co_u32_e32 v75, vcc, 0, v105, vcc
	s_waitcnt lgkmcnt(0)
	s_barrier
	global_load_dwordx2 v[76:77], v[74:75], off offset:768
	v_add_co_u32_e32 v78, vcc, s5, v108
	v_addc_co_u32_e32 v79, vcc, 0, v105, vcc
	global_load_dwordx2 v[90:91], v[78:79], off offset:1376
	s_mov_b32 s5, 0xb000
	v_add_co_u32_e32 v80, vcc, s5, v108
	v_addc_co_u32_e32 v81, vcc, 0, v105, vcc
	s_mov_b32 s5, 0xc000
	v_add_co_u32_e32 v74, vcc, s5, v108
	v_addc_co_u32_e32 v75, vcc, 0, v105, vcc
	;; [unrolled: 3-line block ×3, first 2 shown]
	s_mov_b32 s5, 0xe000
	v_add_co_u32_e32 v84, vcc, s5, v108
	global_load_dwordx2 v[92:93], v[80:81], off offset:1984
	global_load_dwordx2 v[169:170], v[82:83], off offset:3200
	v_addc_co_u32_e32 v85, vcc, 0, v105, vcc
	global_load_dwordx2 v[173:174], v[84:85], off offset:3808
	global_load_dwordx2 v[102:103], v[74:75], off offset:2592
	s_mov_b32 s5, 0x10000
	v_add_co_u32_e32 v86, vcc, s5, v108
	v_addc_co_u32_e32 v87, vcc, 0, v105, vcc
	s_mov_b32 s5, 0x11000
	v_add_co_u32_e32 v88, vcc, s5, v108
	global_load_dwordx2 v[177:178], v[86:87], off offset:320
	v_addc_co_u32_e32 v89, vcc, 0, v105, vcc
	global_load_dwordx2 v[179:180], v[88:89], off offset:928
	s_mov_b32 s4, 0x9300
	v_add_co_u32_e32 v74, vcc, s4, v108
	v_addc_co_u32_e32 v75, vcc, 0, v105, vcc
	global_load_dwordx2 v[181:182], v[78:79], off offset:3168
	global_load_dwordx2 v[183:184], v[74:75], off offset:1792
	;; [unrolled: 1-line block ×4, first 2 shown]
	s_mov_b32 s4, 0xf000
	global_load_dwordx2 v[189:190], v[84:85], off offset:896
	v_add_co_u32_e32 v82, vcc, s4, v108
	v_addc_co_u32_e32 v83, vcc, 0, v105, vcc
	global_load_dwordx2 v[191:192], v[82:83], off offset:1504
	ds_read2_b64 v[78:81], v153 offset1:224
	global_load_dwordx2 v[193:194], v[88:89], off offset:2720
	global_load_dwordx2 v[195:196], v[86:87], off offset:2112
	s_waitcnt vmcnt(15) lgkmcnt(0)
	v_mul_f32_e32 v82, v79, v77
	v_mul_f32_e32 v83, v78, v77
	v_fma_f32 v82, v78, v76, -v82
	v_fmac_f32_e32 v83, v79, v76
	ds_write_b64 v153, v[82:83]
	v_add_u32_e32 v76, 0x1200, v153
	ds_read2_b64 v[82:85], v76 offset0:12 offset1:236
	v_add_u32_e32 v78, 0x2400, v153
	ds_read2_b64 v[86:89], v78 offset0:24 offset1:248
	;; [unrolled: 2-line block ×3, first 2 shown]
	s_waitcnt vmcnt(14) lgkmcnt(2)
	v_mul_f32_e32 v77, v83, v91
	v_mul_f32_e32 v198, v82, v91
	v_fma_f32 v197, v82, v90, -v77
	v_fmac_f32_e32 v198, v83, v90
	v_add_u32_e32 v90, 0x4900, v153
	ds_read2_b64 v[98:101], v90 offset0:16 offset1:240
	v_add_u32_e32 v91, 0x5b00, v153
	s_waitcnt vmcnt(13) lgkmcnt(2)
	v_mul_f32_e32 v77, v87, v93
	v_mul_f32_e32 v83, v86, v93
	v_fma_f32 v82, v86, v92, -v77
	v_fmac_f32_e32 v83, v87, v92
	s_waitcnt vmcnt(12) lgkmcnt(0)
	v_mul_f32_e32 v93, v98, v170
	s_waitcnt vmcnt(10)
	v_mul_f32_e32 v77, v95, v103
	v_mul_f32_e32 v87, v94, v103
	v_fma_f32 v86, v94, v102, -v77
	v_fmac_f32_e32 v87, v95, v102
	ds_read2_b64 v[102:105], v91 offset0:28 offset1:252
	v_mul_f32_e32 v77, v99, v170
	v_add_u32_e32 v94, 0x6e00, v153
	v_fma_f32 v92, v98, v169, -v77
	v_fmac_f32_e32 v93, v99, v169
	s_waitcnt lgkmcnt(0)
	v_mul_f32_e32 v77, v103, v174
	ds_read2_b64 v[169:172], v94 offset0:8 offset1:232
	v_mul_f32_e32 v99, v102, v174
	v_add_u32_e32 v95, 0x8000, v153
	v_fma_f32 v98, v102, v173, -v77
	v_fmac_f32_e32 v99, v103, v173
	ds_read2_b64 v[173:176], v95 offset0:20 offset1:244
	s_waitcnt vmcnt(9) lgkmcnt(1)
	v_mul_f32_e32 v77, v170, v178
	v_mul_f32_e32 v103, v169, v178
	v_fma_f32 v102, v169, v177, -v77
	v_fmac_f32_e32 v103, v170, v177
	s_waitcnt vmcnt(8) lgkmcnt(0)
	v_mul_f32_e32 v77, v174, v180
	v_mul_f32_e32 v170, v173, v180
	v_fma_f32 v169, v173, v179, -v77
	v_fmac_f32_e32 v170, v174, v179
	s_waitcnt vmcnt(6)
	v_mul_f32_e32 v77, v81, v184
	v_mul_f32_e32 v174, v80, v184
	v_fma_f32 v173, v80, v183, -v77
	v_fmac_f32_e32 v174, v81, v183
	v_mul_f32_e32 v77, v85, v182
	v_mul_f32_e32 v81, v84, v182
	v_fma_f32 v80, v84, v181, -v77
	v_fmac_f32_e32 v81, v85, v181
	ds_write2_b64 v76, v[197:198], v[80:81] offset0:12 offset1:236
	s_waitcnt vmcnt(4)
	v_mul_f32_e32 v77, v89, v188
	v_mul_f32_e32 v81, v88, v188
	v_fma_f32 v80, v88, v187, -v77
	v_fmac_f32_e32 v81, v89, v187
	ds_write2_b64 v78, v[82:83], v[80:81] offset0:24 offset1:248
	v_mul_f32_e32 v77, v97, v186
	v_mul_f32_e32 v81, v96, v186
	v_fma_f32 v80, v96, v185, -v77
	v_fmac_f32_e32 v81, v97, v185
	ds_write2_b64 v79, v[86:87], v[80:81] offset0:4 offset1:228
	s_waitcnt vmcnt(3)
	v_mul_f32_e32 v77, v101, v190
	v_mul_f32_e32 v81, v100, v190
	v_fma_f32 v80, v100, v189, -v77
	v_fmac_f32_e32 v81, v101, v189
	ds_write2_b64 v90, v[92:93], v[80:81] offset0:16 offset1:240
	s_waitcnt vmcnt(2)
	;; [unrolled: 6-line block ×3, first 2 shown]
	v_mul_f32_e32 v77, v172, v196
	v_mul_f32_e32 v81, v171, v196
	v_fma_f32 v80, v171, v195, -v77
	v_fmac_f32_e32 v81, v172, v195
	ds_write2_b64 v94, v[102:103], v[80:81] offset0:8 offset1:232
	v_mul_f32_e32 v77, v176, v194
	v_mul_f32_e32 v81, v175, v194
	v_fma_f32 v80, v175, v193, -v77
	v_fmac_f32_e32 v81, v176, v193
	ds_write_b64 v153, v[173:174] offset:1792
	ds_write2_b64 v95, v[169:170], v[80:81] offset0:20 offset1:244
	s_and_saveexec_b64 s[4:5], s[0:1]
	s_cbranch_execz .LBB0_13
; %bb.12:
	v_add_co_u32_e32 v80, vcc, 0x2000, v74
	v_addc_co_u32_e32 v81, vcc, 0, v75, vcc
	v_add_co_u32_e32 v84, vcc, s14, v74
	v_addc_co_u32_e32 v85, vcc, 0, v75, vcc
	s_movk_i32 s7, 0x4000
	v_add_co_u32_e32 v86, vcc, s7, v74
	v_addc_co_u32_e32 v87, vcc, 0, v75, vcc
	s_movk_i32 s7, 0x5000
	v_add_co_u32_e32 v88, vcc, s7, v74
	global_load_dwordx2 v[82:83], v[74:75], off offset:3584
	s_nop 0
	global_load_dwordx2 v[80:81], v[80:81], off offset:96
	v_addc_co_u32_e32 v89, vcc, 0, v75, vcc
	s_movk_i32 s7, 0x6000
	v_add_co_u32_e32 v92, vcc, s7, v74
	global_load_dwordx2 v[84:85], v[84:85], off offset:704
	s_nop 0
	global_load_dwordx2 v[86:87], v[86:87], off offset:1312
	v_addc_co_u32_e32 v93, vcc, 0, v75, vcc
	global_load_dwordx2 v[88:89], v[88:89], off offset:1920
	v_add_co_u32_e32 v96, vcc, s6, v74
	global_load_dwordx2 v[92:93], v[92:93], off offset:2528
	v_addc_co_u32_e32 v97, vcc, 0, v75, vcc
	global_load_dwordx2 v[96:97], v[96:97], off offset:3136
	v_add_co_u32_e32 v74, vcc, 0x8000, v74
	v_addc_co_u32_e32 v75, vcc, 0, v75, vcc
	global_load_dwordx2 v[74:75], v[74:75], off offset:3744
	ds_read_b64 v[98:99], v153 offset:3584
	ds_read_b64 v[100:101], v153 offset:8288
	;; [unrolled: 1-line block ×8, first 2 shown]
	s_waitcnt vmcnt(7) lgkmcnt(7)
	v_mul_f32_e32 v77, v99, v83
	v_mul_f32_e32 v178, v98, v83
	v_fma_f32 v177, v98, v82, -v77
	v_fmac_f32_e32 v178, v99, v82
	s_waitcnt vmcnt(6) lgkmcnt(6)
	v_mul_f32_e32 v77, v101, v81
	v_mul_f32_e32 v82, v100, v81
	v_fma_f32 v81, v100, v80, -v77
	v_fmac_f32_e32 v82, v101, v80
	s_waitcnt vmcnt(5) lgkmcnt(5)
	v_mul_f32_e32 v77, v103, v85
	v_mul_f32_e32 v83, v102, v85
	ds_write_b64 v153, v[81:82] offset:8288
	v_fma_f32 v82, v102, v84, -v77
	v_fmac_f32_e32 v83, v103, v84
	s_waitcnt vmcnt(4) lgkmcnt(5)
	v_mul_f32_e32 v77, v105, v87
	v_mul_f32_e32 v81, v104, v87
	ds_write_b64 v153, v[82:83] offset:12992
	;; [unrolled: 6-line block ×3, first 2 shown]
	v_fma_f32 v81, v169, v88, -v77
	v_fmac_f32_e32 v82, v170, v88
	s_waitcnt vmcnt(2) lgkmcnt(5)
	v_mul_f32_e32 v77, v172, v93
	ds_write_b64 v153, v[81:82] offset:22400
	v_fma_f32 v82, v171, v92, -v77
	s_waitcnt vmcnt(1) lgkmcnt(5)
	v_mul_f32_e32 v77, v174, v97
	v_mul_f32_e32 v81, v173, v97
	v_fma_f32 v80, v173, v96, -v77
	v_fmac_f32_e32 v81, v174, v96
	v_mul_f32_e32 v83, v171, v93
	s_waitcnt vmcnt(0) lgkmcnt(4)
	v_mul_f32_e32 v77, v176, v75
	ds_write_b64 v153, v[80:81] offset:31808
	v_mul_f32_e32 v81, v175, v75
	v_fmac_f32_e32 v83, v172, v92
	v_fma_f32 v80, v175, v74, -v77
	v_fmac_f32_e32 v81, v176, v74
	ds_write_b64 v153, v[177:178] offset:3584
	ds_write_b64 v153, v[82:83] offset:27104
	;; [unrolled: 1-line block ×3, first 2 shown]
.LBB0_13:
	s_or_b64 exec, exec, s[4:5]
	s_waitcnt lgkmcnt(0)
	s_barrier
	ds_read2_b64 v[82:85], v153 offset1:224
	ds_read2_b64 v[74:77], v76 offset0:12 offset1:236
	ds_read2_b64 v[86:89], v78 offset0:24 offset1:248
	;; [unrolled: 1-line block ×7, first 2 shown]
	s_and_saveexec_b64 s[4:5], s[0:1]
	s_cbranch_execz .LBB0_15
; %bb.14:
	ds_read_b64 v[70:71], v153 offset:8288
	ds_read_b64 v[149:150], v153 offset:12992
	;; [unrolled: 1-line block ×8, first 2 shown]
.LBB0_15:
	s_or_b64 exec, exec, s[4:5]
	s_waitcnt lgkmcnt(3)
	v_sub_f32_e32 v99, v83, v99
	s_waitcnt lgkmcnt(1)
	v_sub_f32_e32 v103, v87, v103
	v_sub_f32_e32 v91, v75, v91
	s_waitcnt lgkmcnt(0)
	v_sub_f32_e32 v95, v79, v95
	v_sub_f32_e32 v98, v82, v98
	v_fma_f32 v83, v83, 2.0, -v99
	v_sub_f32_e32 v102, v86, v102
	v_fma_f32 v87, v87, 2.0, -v103
	;; [unrolled: 2-line block ×4, first 2 shown]
	v_fma_f32 v82, v82, 2.0, -v98
	v_fma_f32 v86, v86, 2.0, -v102
	v_fma_f32 v74, v74, 2.0, -v90
	v_fma_f32 v78, v78, 2.0, -v94
	v_sub_f32_e32 v87, v83, v87
	v_sub_f32_e32 v79, v75, v79
	;; [unrolled: 1-line block ×3, first 2 shown]
	v_fma_f32 v83, v83, 2.0, -v87
	v_sub_f32_e32 v78, v74, v78
	v_fma_f32 v75, v75, 2.0, -v79
	v_fma_f32 v82, v82, 2.0, -v86
	v_add_f32_e32 v103, v98, v103
	v_sub_f32_e32 v102, v99, v102
	v_fma_f32 v74, v74, 2.0, -v78
	v_sub_f32_e32 v170, v83, v75
	v_fma_f32 v98, v98, 2.0, -v103
	v_fma_f32 v99, v99, 2.0, -v102
	v_add_f32_e32 v95, v90, v95
	v_sub_f32_e32 v94, v91, v94
	v_sub_f32_e32 v169, v82, v74
	v_fma_f32 v174, v83, 2.0, -v170
	v_sub_f32_e32 v178, v87, v78
	v_sub_f32_e32 v75, v85, v101
	;; [unrolled: 1-line block ×3, first 2 shown]
	v_fma_f32 v90, v90, 2.0, -v95
	v_fma_f32 v91, v91, 2.0, -v94
	;; [unrolled: 1-line block ×3, first 2 shown]
	v_mov_b32_e32 v171, v98
	v_mov_b32_e32 v172, v99
	v_add_f32_e32 v177, v86, v79
	v_fma_f32 v182, v87, 2.0, -v178
	v_mov_b32_e32 v179, v103
	v_sub_f32_e32 v74, v84, v100
	v_fma_f32 v79, v85, 2.0, -v75
	v_sub_f32_e32 v82, v88, v104
	v_fma_f32 v85, v89, 2.0, -v83
	v_sub_f32_e32 v87, v77, v93
	v_sub_f32_e32 v89, v81, v97
	v_fmac_f32_e32 v171, 0xbf3504f3, v90
	v_fmac_f32_e32 v172, 0xbf3504f3, v91
	v_fma_f32 v181, v86, 2.0, -v177
	v_fmac_f32_e32 v179, 0x3f3504f3, v95
	v_mov_b32_e32 v180, v102
	v_fma_f32 v78, v84, 2.0, -v74
	v_fma_f32 v84, v88, 2.0, -v82
	v_sub_f32_e32 v86, v76, v92
	v_fma_f32 v77, v77, 2.0, -v87
	v_sub_f32_e32 v88, v80, v96
	v_fma_f32 v81, v81, 2.0, -v89
	v_fmac_f32_e32 v171, 0x3f3504f3, v91
	v_fmac_f32_e32 v172, 0xbf3504f3, v90
	;; [unrolled: 1-line block ×4, first 2 shown]
	v_fma_f32 v76, v76, 2.0, -v86
	v_fma_f32 v80, v80, 2.0, -v88
	v_sub_f32_e32 v94, v78, v84
	v_add_f32_e32 v83, v74, v83
	v_sub_f32_e32 v82, v75, v82
	v_sub_f32_e32 v81, v77, v81
	v_fma_f32 v175, v98, 2.0, -v171
	v_fma_f32 v176, v99, 2.0, -v172
	v_fmac_f32_e32 v180, 0xbf3504f3, v95
	v_sub_f32_e32 v95, v79, v85
	v_fma_f32 v74, v74, 2.0, -v83
	v_fma_f32 v75, v75, 2.0, -v82
	v_sub_f32_e32 v80, v76, v80
	v_add_f32_e32 v98, v86, v89
	v_sub_f32_e32 v99, v87, v88
	v_add_f32_e32 v92, v94, v81
	v_fma_f32 v78, v78, 2.0, -v94
	v_fma_f32 v90, v86, 2.0, -v98
	v_fma_f32 v91, v87, 2.0, -v99
	v_mov_b32_e32 v86, v74
	v_mov_b32_e32 v87, v75
	v_sub_f32_e32 v93, v95, v80
	v_fma_f32 v96, v94, 2.0, -v92
	v_mov_b32_e32 v94, v83
	v_fma_f32 v79, v79, 2.0, -v95
	v_fma_f32 v76, v76, 2.0, -v80
	v_fmac_f32_e32 v86, 0xbf3504f3, v90
	v_fmac_f32_e32 v87, 0xbf3504f3, v91
	v_fma_f32 v97, v95, 2.0, -v93
	v_fmac_f32_e32 v94, 0x3f3504f3, v98
	v_mov_b32_e32 v95, v82
	v_fma_f32 v183, v103, 2.0, -v179
	v_fma_f32 v184, v102, 2.0, -v180
	v_fma_f32 v77, v77, 2.0, -v81
	v_sub_f32_e32 v84, v78, v76
	v_fmac_f32_e32 v86, 0x3f3504f3, v91
	v_fmac_f32_e32 v87, 0xbf3504f3, v90
	;; [unrolled: 1-line block ×4, first 2 shown]
	v_sub_f32_e32 v72, v151, v72
	v_sub_f32_e32 v73, v152, v73
	;; [unrolled: 1-line block ×9, first 2 shown]
	v_fma_f32 v88, v78, 2.0, -v84
	v_fma_f32 v90, v74, 2.0, -v86
	;; [unrolled: 1-line block ×3, first 2 shown]
	v_fmac_f32_e32 v95, 0xbf3504f3, v98
	v_fma_f32 v98, v83, 2.0, -v94
	v_fma_f32 v74, v151, 2.0, -v72
	;; [unrolled: 1-line block ×9, first 2 shown]
	v_add_f32_e32 v81, v81, v72
	v_sub_f32_e32 v83, v73, v80
	v_fma_f32 v89, v79, 2.0, -v85
	v_fma_f32 v99, v82, 2.0, -v95
	v_sub_f32_e32 v77, v74, v76
	v_sub_f32_e32 v79, v75, v78
	v_fma_f32 v80, v72, 2.0, -v81
	v_fma_f32 v82, v73, 2.0, -v83
	v_sub_f32_e32 v73, v70, v68
	v_sub_f32_e32 v72, v71, v69
	v_add_f32_e32 v103, v103, v100
	v_sub_f32_e32 v102, v101, v102
	v_fma_f32 v76, v74, 2.0, -v77
	v_fma_f32 v78, v75, 2.0, -v79
	;; [unrolled: 1-line block ×6, first 2 shown]
	v_mov_b32_e32 v70, v80
	v_mov_b32_e32 v71, v82
	v_fmac_f32_e32 v70, 0xbf3504f3, v74
	v_fmac_f32_e32 v71, 0xbf3504f3, v75
	;; [unrolled: 1-line block ×4, first 2 shown]
	v_mov_b32_e32 v74, v81
	v_mov_b32_e32 v75, v83
	v_fmac_f32_e32 v74, 0x3f3504f3, v103
	v_fmac_f32_e32 v75, 0x3f3504f3, v102
	v_sub_f32_e32 v68, v76, v68
	v_sub_f32_e32 v69, v78, v69
	v_add_f32_e32 v72, v72, v77
	v_sub_f32_e32 v73, v79, v73
	v_fmac_f32_e32 v74, 0x3f3504f3, v102
	v_fmac_f32_e32 v75, 0xbf3504f3, v103
	s_barrier
	ds_write_b128 v157, v[173:176]
	ds_write_b128 v157, v[181:184] offset:16
	ds_write_b128 v157, v[169:172] offset:32
	ds_write_b128 v157, v[177:180] offset:48
	ds_write_b128 v158, v[88:91]
	ds_write_b128 v158, v[96:99] offset:16
	ds_write_b128 v158, v[84:87] offset:32
	;; [unrolled: 1-line block ×3, first 2 shown]
	s_and_saveexec_b64 s[4:5], s[0:1]
	s_cbranch_execz .LBB0_17
; %bb.16:
	v_fma_f32 v85, v81, 2.0, -v74
	v_fma_f32 v84, v79, 2.0, -v73
	;; [unrolled: 1-line block ×8, first 2 shown]
	ds_write_b128 v156, v[78:81]
	ds_write_b128 v156, v[83:86] offset:16
	ds_write_b128 v156, v[68:71] offset:32
	;; [unrolled: 1-line block ×3, first 2 shown]
.LBB0_17:
	s_or_b64 exec, exec, s[4:5]
	v_add_u32_e32 v76, 0x2400, v153
	s_waitcnt lgkmcnt(0)
	s_barrier
	ds_read2_b64 v[104:107], v76 offset0:24 offset1:248
	v_add_u32_e32 v76, 0x4900, v153
	v_add_u32_e32 v84, 0x3200, v153
	ds_read2_b64 v[100:103], v76 offset0:16 offset1:240
	v_add_u32_e32 v76, 0x6e00, v153
	ds_read2_b64 v[92:95], v84 offset0:24 offset1:248
	;; [unrolled: 2-line block ×4, first 2 shown]
	v_add_u32_e32 v84, 0x7c00, v153
	ds_read2_b64 v[80:83], v153 offset1:224
	ds_read2_b64 v[76:79], v76 offset1:224
	ds_read2_b64 v[84:87], v84 offset0:8 offset1:232
	ds_read_b64 v[151:152], v153 offset:16576
	ds_read_b64 v[149:150], v153 offset:25984
	;; [unrolled: 1-line block ×4, first 2 shown]
	s_and_saveexec_b64 s[4:5], s[2:3]
	s_cbranch_execz .LBB0_19
; %bb.18:
	ds_read_b64 v[70:71], v153 offset:18368
	ds_read_b64 v[72:73], v153 offset:27776
	ds_read_b64 v[68:69], v153 offset:8960
	ds_read_b64 v[74:75], v153 offset:37184
.LBB0_19:
	s_or_b64 exec, exec, s[4:5]
	s_waitcnt lgkmcnt(11)
	v_mul_f32_e32 v156, v1, v105
	v_fmac_f32_e32 v156, v0, v104
	v_mul_f32_e32 v104, v1, v104
	v_fma_f32 v104, v0, v105, -v104
	s_waitcnt lgkmcnt(10)
	v_mul_f32_e32 v105, v3, v101
	v_fmac_f32_e32 v105, v2, v100
	v_mul_f32_e32 v100, v3, v100
	v_fma_f32 v100, v2, v101, -v100
	;; [unrolled: 5-line block ×3, first 2 shown]
	v_mul_f32_e32 v97, v1, v107
	v_fmac_f32_e32 v97, v0, v106
	v_mul_f32_e32 v106, v1, v106
	s_waitcnt lgkmcnt(4)
	v_mul_f32_e32 v170, v144, v85
	v_fma_f32 v106, v0, v107, -v106
	v_mul_f32_e32 v107, v3, v103
	v_fmac_f32_e32 v170, v143, v84
	v_mul_f32_e32 v84, v144, v84
	v_fmac_f32_e32 v107, v2, v102
	v_mul_f32_e32 v102, v3, v102
	v_fma_f32 v171, v143, v85, -v84
	v_mul_f32_e32 v84, v1, v94
	v_fma_f32 v102, v2, v103, -v102
	;; [unrolled: 2-line block ×3, first 2 shown]
	v_mul_f32_e32 v84, v3, v90
	v_fmac_f32_e32 v103, v143, v98
	v_mul_f32_e32 v98, v144, v98
	v_fma_f32 v175, v2, v91, -v84
	v_mul_f32_e32 v84, v144, v86
	v_fma_f32 v98, v143, v99, -v98
	v_mul_f32_e32 v99, v1, v93
	v_mul_f32_e32 v158, v3, v89
	v_fma_f32 v177, v143, v87, -v84
	s_waitcnt lgkmcnt(3)
	v_mul_f32_e32 v178, v1, v152
	v_mul_f32_e32 v84, v1, v151
	v_fmac_f32_e32 v99, v0, v92
	v_mul_f32_e32 v92, v1, v92
	v_fmac_f32_e32 v158, v2, v88
	;; [unrolled: 2-line block ×3, first 2 shown]
	v_fma_f32 v151, v0, v152, -v84
	s_waitcnt lgkmcnt(2)
	v_mul_f32_e32 v152, v3, v150
	v_mul_f32_e32 v84, v3, v149
	v_fma_f32 v157, v0, v93, -v92
	v_fma_f32 v169, v2, v89, -v88
	v_mul_f32_e32 v172, v1, v95
	v_fmac_f32_e32 v152, v2, v149
	v_fma_f32 v149, v2, v150, -v84
	s_waitcnt lgkmcnt(0)
	v_mul_f32_e32 v150, v144, v148
	v_mul_f32_e32 v84, v144, v147
	v_fmac_f32_e32 v172, v0, v94
	v_mul_f32_e32 v174, v3, v91
	v_mul_f32_e32 v176, v144, v87
	v_fmac_f32_e32 v150, v143, v147
	v_fma_f32 v147, v143, v148, -v84
	v_sub_f32_e32 v88, v80, v105
	v_sub_f32_e32 v87, v156, v101
	v_sub_f32_e32 v94, v82, v107
	v_sub_f32_e32 v93, v97, v103
	v_sub_f32_e32 v92, v106, v98
	v_sub_f32_e32 v101, v77, v169
	v_sub_f32_e32 v98, v157, v171
	v_fmac_f32_e32 v174, v2, v90
	v_fmac_f32_e32 v176, v143, v86
	v_sub_f32_e32 v89, v81, v100
	v_fma_f32 v84, v80, 2.0, -v88
	v_sub_f32_e32 v86, v104, v96
	v_fma_f32 v80, v156, 2.0, -v87
	;; [unrolled: 2-line block ×3, first 2 shown]
	v_fma_f32 v82, v97, 2.0, -v93
	v_fma_f32 v97, v77, 2.0, -v101
	;; [unrolled: 1-line block ×3, first 2 shown]
	v_sub_f32_e32 v152, v145, v152
	v_sub_f32_e32 v156, v146, v149
	;; [unrolled: 1-line block ×4, first 2 shown]
	v_fma_f32 v85, v81, 2.0, -v89
	v_fma_f32 v81, v104, 2.0, -v86
	;; [unrolled: 1-line block ×4, first 2 shown]
	v_sub_f32_e32 v100, v76, v158
	v_sub_f32_e32 v102, v99, v170
	;; [unrolled: 1-line block ×6, first 2 shown]
	v_fma_f32 v148, v145, 2.0, -v152
	v_fma_f32 v149, v146, 2.0, -v156
	;; [unrolled: 1-line block ×4, first 2 shown]
	v_sub_f32_e32 v80, v84, v80
	v_sub_f32_e32 v81, v85, v81
	v_add_f32_e32 v86, v88, v86
	v_sub_f32_e32 v87, v89, v87
	v_fma_f32 v96, v76, 2.0, -v100
	v_fma_f32 v76, v99, 2.0, -v102
	v_sub_f32_e32 v99, v101, v102
	v_fma_f32 v102, v78, 2.0, -v106
	v_fma_f32 v103, v79, 2.0, -v107
	;; [unrolled: 1-line block ×4, first 2 shown]
	v_sub_f32_e32 v145, v148, v145
	v_sub_f32_e32 v146, v149, v146
	v_fma_f32 v84, v84, 2.0, -v80
	v_fma_f32 v85, v85, 2.0, -v81
	;; [unrolled: 1-line block ×4, first 2 shown]
	v_sub_f32_e32 v82, v90, v82
	v_sub_f32_e32 v83, v91, v83
	v_add_f32_e32 v92, v94, v92
	v_sub_f32_e32 v93, v95, v93
	v_sub_f32_e32 v76, v96, v76
	;; [unrolled: 1-line block ×3, first 2 shown]
	v_add_f32_e32 v98, v100, v98
	v_sub_f32_e32 v78, v102, v78
	v_sub_f32_e32 v79, v103, v79
	v_add_f32_e32 v104, v106, v104
	v_sub_f32_e32 v105, v107, v105
	v_fma_f32 v147, v148, 2.0, -v145
	v_fma_f32 v148, v149, 2.0, -v146
	v_add_f32_e32 v149, v152, v157
	v_sub_f32_e32 v150, v156, v150
	v_fma_f32 v90, v90, 2.0, -v82
	v_fma_f32 v91, v91, 2.0, -v83
	;; [unrolled: 1-line block ×14, first 2 shown]
	s_barrier
	ds_write2_b64 v160, v[84:85], v[88:89] offset1:8
	ds_write2_b64 v160, v[80:81], v[86:87] offset0:16 offset1:24
	ds_write2_b64 v161, v[90:91], v[94:95] offset1:8
	ds_write2_b64 v161, v[82:83], v[92:93] offset0:16 offset1:24
	;; [unrolled: 2-line block ×5, first 2 shown]
	s_and_saveexec_b64 s[4:5], s[2:3]
	s_cbranch_execz .LBB0_21
; %bb.20:
	v_mul_f32_e32 v76, v3, v72
	v_mul_f32_e32 v80, v1, v71
	;; [unrolled: 1-line block ×3, first 2 shown]
	v_fma_f32 v76, v2, v73, -v76
	v_fmac_f32_e32 v80, v0, v70
	v_mul_f32_e32 v3, v3, v73
	v_fma_f32 v0, v0, v71, -v1
	v_mul_f32_e32 v1, v144, v74
	v_sub_f32_e32 v79, v69, v76
	v_mul_f32_e32 v76, v144, v75
	v_fmac_f32_e32 v3, v2, v72
	v_fma_f32 v1, v143, v75, -v1
	v_fmac_f32_e32 v76, v143, v74
	v_sub_f32_e32 v2, v68, v3
	v_sub_f32_e32 v1, v0, v1
	;; [unrolled: 1-line block ×3, first 2 shown]
	v_add_f32_e32 v75, v2, v1
	v_fma_f32 v3, v69, 2.0, -v79
	v_fma_f32 v0, v0, 2.0, -v1
	;; [unrolled: 1-line block ×3, first 2 shown]
	v_sub_f32_e32 v1, v3, v0
	v_fma_f32 v2, v68, 2.0, -v2
	v_fma_f32 v0, v80, 2.0, -v81
	s_movk_i32 s2, 0x13e0
	v_sub_f32_e32 v76, v79, v81
	v_sub_f32_e32 v0, v2, v0
	v_and_or_b32 v68, v159, s2, v155
	v_fma_f32 v78, v79, 2.0, -v76
	v_fma_f32 v3, v3, 2.0, -v1
	;; [unrolled: 1-line block ×3, first 2 shown]
	v_lshlrev_b32_e32 v68, 3, v68
	ds_write2_b64 v68, v[2:3], v[77:78] offset1:8
	ds_write2_b64 v68, v[0:1], v[75:76] offset0:16 offset1:24
.LBB0_21:
	s_or_b64 exec, exec, s[4:5]
	v_add_u32_e32 v3, 0xe00, v153
	s_waitcnt lgkmcnt(0)
	s_barrier
	ds_read2_b64 v[79:82], v3 offset1:224
	v_add_u32_e32 v73, 0x2a00, v153
	ds_read2_b64 v[83:86], v73 offset1:224
	v_add_u32_e32 v70, 0x3800, v153
	;; [unrolled: 2-line block ×3, first 2 shown]
	s_waitcnt lgkmcnt(2)
	v_mul_f32_e32 v107, v13, v82
	ds_read2_b64 v[91:94], v2 offset1:224
	v_fmac_f32_e32 v107, v12, v81
	v_mul_f32_e32 v81, v13, v81
	v_add_u32_e32 v74, 0x6200, v153
	v_fma_f32 v81, v12, v82, -v81
	s_waitcnt lgkmcnt(2)
	v_mul_f32_e32 v82, v15, v84
	ds_read2_b64 v[95:98], v74 offset1:224
	v_fmac_f32_e32 v82, v14, v83
	v_mul_f32_e32 v83, v15, v83
	v_add_u32_e32 v68, 0x7e00, v153
	v_fma_f32 v83, v14, v84, -v83
	;; [unrolled: 7-line block ×3, first 2 shown]
	s_waitcnt lgkmcnt(2)
	v_mul_f32_e32 v90, v11, v92
	ds_read2_b64 v[103:106], v69 offset1:224
	v_fmac_f32_e32 v90, v10, v91
	v_mul_f32_e32 v91, v11, v91
	v_fma_f32 v91, v10, v92, -v91
	s_waitcnt lgkmcnt(2)
	v_mul_f32_e32 v92, v5, v98
	v_fmac_f32_e32 v92, v4, v97
	v_mul_f32_e32 v97, v5, v97
	v_add_u32_e32 v71, 0x4600, v153
	v_fma_f32 v97, v4, v98, -v97
	s_waitcnt lgkmcnt(1)
	v_mul_f32_e32 v98, v7, v100
	ds_read2_b64 v[143:146], v71 offset1:224
	v_fmac_f32_e32 v98, v6, v99
	v_mul_f32_e32 v99, v7, v99
	v_fma_f32 v99, v6, v100, -v99
	s_waitcnt lgkmcnt(1)
	v_mul_f32_e32 v100, v13, v104
	v_fmac_f32_e32 v100, v12, v103
	v_mul_f32_e32 v103, v13, v103
	v_fma_f32 v103, v12, v104, -v103
	v_mul_f32_e32 v104, v15, v86
	v_add_u32_e32 v72, 0x7000, v153
	v_fmac_f32_e32 v104, v14, v85
	v_mul_f32_e32 v85, v15, v85
	ds_read2_b64 v[75:78], v153 offset1:224
	ds_read2_b64 v[147:150], v72 offset1:224
	ds_read_b64 v[151:152], v153 offset:35840
	v_fma_f32 v85, v14, v86, -v85
	s_waitcnt lgkmcnt(3)
	v_mul_f32_e32 v86, v9, v144
	v_fmac_f32_e32 v86, v8, v143
	v_mul_f32_e32 v143, v9, v143
	v_fma_f32 v143, v8, v144, -v143
	v_mul_f32_e32 v144, v11, v94
	v_fmac_f32_e32 v144, v10, v93
	v_mul_f32_e32 v93, v11, v93
	v_fma_f32 v93, v10, v94, -v93
	s_waitcnt lgkmcnt(1)
	v_mul_f32_e32 v94, v5, v148
	v_fmac_f32_e32 v94, v4, v147
	v_mul_f32_e32 v147, v5, v147
	v_mul_f32_e32 v156, v9, v146
	;; [unrolled: 1-line block ×3, first 2 shown]
	v_fma_f32 v147, v4, v148, -v147
	v_mul_f32_e32 v148, v7, v102
	v_fmac_f32_e32 v156, v8, v145
	v_fma_f32 v145, v8, v146, -v9
	v_mul_f32_e32 v146, v11, v96
	v_mul_f32_e32 v8, v11, v95
	v_fmac_f32_e32 v148, v6, v101
	v_mul_f32_e32 v101, v7, v101
	v_fmac_f32_e32 v146, v10, v95
	v_fma_f32 v95, v10, v96, -v8
	v_mul_f32_e32 v96, v5, v150
	v_mul_f32_e32 v5, v5, v149
	v_fma_f32 v101, v6, v102, -v101
	v_mul_f32_e32 v102, v13, v106
	v_mul_f32_e32 v13, v13, v105
	v_fmac_f32_e32 v96, v4, v149
	v_fma_f32 v149, v4, v150, -v5
	s_waitcnt lgkmcnt(0)
	v_mul_f32_e32 v150, v7, v152
	v_mul_f32_e32 v4, v7, v151
	v_fmac_f32_e32 v102, v12, v105
	v_fma_f32 v105, v12, v106, -v13
	v_mul_f32_e32 v106, v15, v88
	v_mul_f32_e32 v12, v15, v87
	v_fmac_f32_e32 v150, v6, v151
	v_fma_f32 v151, v6, v152, -v4
	v_add_f32_e32 v4, v107, v98
	v_add_f32_e32 v8, v82, v92
	v_fmac_f32_e32 v106, v14, v87
	v_fma_f32 v155, v14, v88, -v12
	v_add_f32_e32 v5, v81, v99
	v_sub_f32_e32 v7, v81, v99
	v_add_f32_e32 v9, v83, v97
	v_sub_f32_e32 v10, v82, v92
	;; [unrolled: 2-line block ×4, first 2 shown]
	v_sub_f32_e32 v11, v83, v97
	v_add_f32_e32 v13, v89, v91
	v_sub_f32_e32 v15, v91, v89
	v_add_f32_e32 v82, v9, v5
	v_sub_f32_e32 v83, v8, v4
	v_sub_f32_e32 v87, v4, v12
	;; [unrolled: 1-line block ×3, first 2 shown]
	v_add_f32_e32 v4, v14, v10
	v_add_f32_e32 v12, v12, v81
	v_sub_f32_e32 v84, v9, v5
	v_sub_f32_e32 v88, v5, v13
	;; [unrolled: 1-line block ×3, first 2 shown]
	v_add_f32_e32 v5, v15, v11
	v_sub_f32_e32 v89, v14, v10
	v_sub_f32_e32 v14, v6, v14
	;; [unrolled: 1-line block ×3, first 2 shown]
	v_add_f32_e32 v13, v13, v82
	v_add_f32_e32 v6, v4, v6
	;; [unrolled: 1-line block ×3, first 2 shown]
	v_mad_u64_u32 v[0:1], s[2:3], s10, v134, 0
	v_sub_f32_e32 v90, v15, v11
	v_sub_f32_e32 v15, v7, v15
	;; [unrolled: 1-line block ×3, first 2 shown]
	v_add_f32_e32 v7, v5, v7
	v_add_f32_e32 v5, v76, v13
	v_mov_b32_e32 v91, v4
	v_mul_f32_e32 v75, 0x3f4a47b2, v87
	v_mul_f32_e32 v76, 0x3f4a47b2, v88
	;; [unrolled: 1-line block ×6, first 2 shown]
	s_mov_b32 s2, 0xbf5ff5aa
	v_mul_f32_e32 v89, 0xbf5ff5aa, v10
	v_mul_f32_e32 v90, 0xbf5ff5aa, v11
	v_fmac_f32_e32 v91, 0xbf955555, v12
	v_mov_b32_e32 v12, v5
	s_mov_b32 s4, 0x3f3bfb3b
	s_mov_b32 s3, 0xbf3bfb3b
	;; [unrolled: 1-line block ×3, first 2 shown]
	v_fmac_f32_e32 v12, 0xbf955555, v13
	v_fma_f32 v13, v83, s4, -v81
	v_fma_f32 v81, v84, s4, -v82
	;; [unrolled: 1-line block ×3, first 2 shown]
	v_fmac_f32_e32 v75, 0x3d64c772, v8
	v_fma_f32 v8, v84, s3, -v76
	v_fmac_f32_e32 v76, 0x3d64c772, v9
	v_fma_f32 v83, v10, s2, -v87
	v_fmac_f32_e32 v87, 0xbeae86e6, v14
	v_fma_f32 v89, v14, s5, -v89
	v_fma_f32 v14, v15, s5, -v90
	v_fma_f32 v84, v11, s2, -v88
	v_fmac_f32_e32 v88, 0xbeae86e6, v15
	v_add_f32_e32 v76, v76, v12
	v_add_f32_e32 v15, v81, v12
	;; [unrolled: 1-line block ×3, first 2 shown]
	v_fmac_f32_e32 v87, 0xbee1c552, v6
	v_fmac_f32_e32 v14, 0xbee1c552, v7
	v_add_f32_e32 v75, v75, v91
	v_add_f32_e32 v13, v13, v91
	;; [unrolled: 1-line block ×3, first 2 shown]
	v_fmac_f32_e32 v88, 0xbee1c552, v7
	v_fmac_f32_e32 v83, 0xbee1c552, v6
	;; [unrolled: 1-line block ×4, first 2 shown]
	v_sub_f32_e32 v7, v76, v87
	v_add_f32_e32 v8, v14, v81
	v_sub_f32_e32 v14, v81, v14
	v_add_f32_e32 v76, v87, v76
	v_add_f32_e32 v81, v100, v148
	;; [unrolled: 1-line block ×4, first 2 shown]
	v_sub_f32_e32 v9, v82, v89
	v_sub_f32_e32 v10, v13, v84
	v_add_f32_e32 v11, v83, v15
	v_add_f32_e32 v12, v84, v13
	v_sub_f32_e32 v13, v15, v83
	v_add_f32_e32 v15, v89, v82
	v_sub_f32_e32 v75, v75, v88
	v_add_f32_e32 v82, v103, v101
	v_add_f32_e32 v88, v85, v147
	;; [unrolled: 1-line block ×4, first 2 shown]
	v_sub_f32_e32 v92, v93, v143
	v_add_f32_e32 v93, v87, v81
	v_sub_f32_e32 v89, v104, v94
	v_add_f32_e32 v94, v88, v82
	v_sub_f32_e32 v97, v87, v81
	v_sub_f32_e32 v81, v81, v90
	;; [unrolled: 1-line block ×3, first 2 shown]
	v_add_f32_e32 v90, v90, v93
	v_sub_f32_e32 v84, v103, v101
	v_sub_f32_e32 v85, v85, v147
	;; [unrolled: 1-line block ×6, first 2 shown]
	v_add_f32_e32 v91, v91, v94
	v_add_f32_e32 v77, v77, v90
	v_sub_f32_e32 v83, v100, v148
	v_add_f32_e32 v99, v86, v89
	v_add_f32_e32 v100, v92, v85
	v_sub_f32_e32 v101, v86, v89
	v_sub_f32_e32 v103, v92, v85
	v_sub_f32_e32 v85, v85, v84
	v_add_f32_e32 v78, v78, v91
	v_mov_b32_e32 v104, v77
	v_sub_f32_e32 v86, v83, v86
	v_sub_f32_e32 v92, v84, v92
	;; [unrolled: 1-line block ×3, first 2 shown]
	v_add_f32_e32 v83, v99, v83
	v_add_f32_e32 v84, v100, v84
	v_mul_f32_e32 v81, 0x3f4a47b2, v81
	v_mul_f32_e32 v82, 0x3f4a47b2, v82
	;; [unrolled: 1-line block ×7, first 2 shown]
	v_fmac_f32_e32 v104, 0xbf955555, v90
	v_mov_b32_e32 v90, v78
	v_mul_f32_e32 v101, 0xbf5ff5aa, v89
	v_fmac_f32_e32 v90, 0xbf955555, v91
	v_fma_f32 v91, v97, s4, -v93
	v_fma_f32 v93, v98, s4, -v94
	;; [unrolled: 1-line block ×3, first 2 shown]
	v_fmac_f32_e32 v81, 0x3d64c772, v87
	v_fma_f32 v87, v98, s3, -v82
	v_fmac_f32_e32 v82, 0x3d64c772, v88
	v_fma_f32 v88, v89, s2, -v99
	;; [unrolled: 2-line block ×4, first 2 shown]
	v_fma_f32 v97, v86, s5, -v101
	v_add_f32_e32 v101, v82, v90
	v_add_f32_e32 v91, v91, v104
	;; [unrolled: 1-line block ×4, first 2 shown]
	v_fmac_f32_e32 v99, 0xbee1c552, v83
	v_fmac_f32_e32 v88, 0xbee1c552, v83
	;; [unrolled: 1-line block ×4, first 2 shown]
	v_add_f32_e32 v98, v81, v104
	v_add_f32_e32 v90, v87, v90
	v_fmac_f32_e32 v100, 0xbee1c552, v84
	v_fmac_f32_e32 v97, 0xbee1c552, v83
	v_sub_f32_e32 v82, v101, v99
	v_add_f32_e32 v83, v92, v94
	v_sub_f32_e32 v85, v91, v89
	v_add_f32_e32 v86, v88, v93
	v_add_f32_e32 v87, v89, v91
	v_sub_f32_e32 v88, v93, v88
	v_sub_f32_e32 v89, v94, v92
	v_add_f32_e32 v92, v99, v101
	v_add_f32_e32 v93, v102, v150
	;; [unrolled: 1-line block ×4, first 2 shown]
	v_sub_f32_e32 v84, v90, v97
	v_add_f32_e32 v90, v97, v90
	v_sub_f32_e32 v91, v98, v100
	v_add_f32_e32 v94, v105, v151
	v_sub_f32_e32 v97, v102, v150
	v_sub_f32_e32 v98, v105, v151
	v_add_f32_e32 v100, v155, v149
	v_add_f32_e32 v102, v156, v146
	;; [unrolled: 1-line block ×3, first 2 shown]
	v_sub_f32_e32 v96, v106, v96
	v_add_f32_e32 v103, v145, v95
	v_add_f32_e32 v106, v100, v94
	v_sub_f32_e32 v107, v99, v93
	v_sub_f32_e32 v93, v93, v102
	;; [unrolled: 1-line block ×3, first 2 shown]
	v_add_f32_e32 v102, v102, v105
	v_sub_f32_e32 v101, v155, v149
	v_sub_f32_e32 v104, v146, v156
	;; [unrolled: 1-line block ×6, first 2 shown]
	v_add_f32_e32 v103, v103, v106
	v_add_f32_e32 v79, v79, v102
	;; [unrolled: 1-line block ×4, first 2 shown]
	v_sub_f32_e32 v146, v104, v96
	v_sub_f32_e32 v147, v95, v101
	;; [unrolled: 1-line block ×4, first 2 shown]
	v_add_f32_e32 v80, v80, v103
	v_mov_b32_e32 v148, v79
	v_sub_f32_e32 v104, v97, v104
	v_sub_f32_e32 v95, v98, v95
	v_add_f32_e32 v97, v144, v97
	v_add_f32_e32 v98, v145, v98
	v_mul_f32_e32 v93, 0x3f4a47b2, v93
	v_mul_f32_e32 v94, 0x3f4a47b2, v94
	v_mul_f32_e32 v105, 0x3d64c772, v99
	v_mul_f32_e32 v106, 0x3d64c772, v100
	v_mul_f32_e32 v144, 0x3f08b237, v146
	v_mul_f32_e32 v145, 0x3f08b237, v147
	v_mul_f32_e32 v146, 0xbf5ff5aa, v96
	v_mul_f32_e32 v147, 0xbf5ff5aa, v101
	v_fmac_f32_e32 v148, 0xbf955555, v102
	v_mov_b32_e32 v102, v80
	v_fmac_f32_e32 v102, 0xbf955555, v103
	v_fma_f32 v103, v107, s4, -v105
	v_fma_f32 v105, v143, s4, -v106
	;; [unrolled: 1-line block ×3, first 2 shown]
	v_fmac_f32_e32 v93, 0x3d64c772, v99
	v_fma_f32 v99, v143, s3, -v94
	v_fmac_f32_e32 v94, 0x3d64c772, v100
	v_fma_f32 v100, v96, s2, -v144
	;; [unrolled: 2-line block ×4, first 2 shown]
	v_fma_f32 v107, v95, s5, -v147
	v_add_f32_e32 v143, v93, v148
	v_add_f32_e32 v146, v94, v102
	;; [unrolled: 1-line block ×6, first 2 shown]
	v_fmac_f32_e32 v144, 0xbee1c552, v97
	v_fmac_f32_e32 v145, 0xbee1c552, v98
	;; [unrolled: 1-line block ×6, first 2 shown]
	v_add_f32_e32 v93, v145, v143
	v_sub_f32_e32 v94, v146, v144
	v_add_f32_e32 v95, v107, v106
	v_sub_f32_e32 v96, v102, v104
	v_sub_f32_e32 v97, v103, v101
	v_add_f32_e32 v98, v100, v105
	v_add_f32_e32 v99, v101, v103
	v_sub_f32_e32 v100, v105, v100
	v_sub_f32_e32 v101, v106, v107
	v_add_f32_e32 v102, v104, v102
	v_sub_f32_e32 v103, v143, v145
	v_add_f32_e32 v104, v144, v146
	s_barrier
	ds_write2_b64 v165, v[4:5], v[6:7] offset1:32
	ds_write2_b64 v165, v[8:9], v[10:11] offset0:64 offset1:96
	ds_write2_b64 v165, v[12:13], v[14:15] offset0:128 offset1:160
	ds_write_b64 v165, v[75:76] offset:1536
	ds_write2_b64 v166, v[77:78], v[81:82] offset1:32
	ds_write2_b64 v166, v[83:84], v[85:86] offset0:64 offset1:96
	ds_write2_b64 v166, v[87:88], v[89:90] offset0:128 offset1:160
	ds_write_b64 v166, v[91:92] offset:1536
	;; [unrolled: 4-line block ×3, first 2 shown]
	s_waitcnt lgkmcnt(0)
	s_barrier
	ds_read2_b64 v[4:7], v153 offset1:224
	ds_read2_b64 v[8:11], v3 offset1:224
	;; [unrolled: 1-line block ×10, first 2 shown]
	ds_read_b64 v[103:104], v153 offset:35840
	s_waitcnt lgkmcnt(9)
	v_mul_f32_e32 v105, v25, v11
	v_fmac_f32_e32 v105, v24, v10
	v_mul_f32_e32 v10, v25, v10
	v_fma_f32 v10, v24, v11, -v10
	s_waitcnt lgkmcnt(8)
	v_mul_f32_e32 v11, v27, v13
	v_fmac_f32_e32 v11, v26, v12
	v_mul_f32_e32 v12, v27, v12
	v_fma_f32 v12, v26, v13, -v12
	;; [unrolled: 5-line block ×6, first 2 shown]
	s_waitcnt lgkmcnt(3)
	v_mul_f32_e32 v88, v25, v92
	v_mul_f32_e32 v25, v25, v91
	v_fmac_f32_e32 v88, v24, v91
	v_fma_f32 v24, v24, v92, -v25
	v_mul_f32_e32 v25, v27, v15
	v_fmac_f32_e32 v25, v26, v14
	v_mul_f32_e32 v14, v27, v14
	v_fma_f32 v26, v26, v15, -v14
	s_waitcnt lgkmcnt(2)
	v_mul_f32_e32 v14, v21, v95
	v_fma_f32 v91, v20, v96, -v14
	v_mul_f32_e32 v92, v23, v82
	v_mul_f32_e32 v14, v23, v81
	v_fmac_f32_e32 v92, v22, v81
	v_fma_f32 v22, v22, v82, -v14
	s_waitcnt lgkmcnt(1)
	v_mul_f32_e32 v14, v17, v99
	v_fma_f32 v81, v16, v100, -v14
	v_mul_f32_e32 v82, v19, v90
	v_mul_f32_e32 v14, v19, v89
	v_fmac_f32_e32 v82, v18, v89
	v_fma_f32 v89, v18, v90, -v14
	v_mul_f32_e32 v90, v37, v94
	v_mul_f32_e32 v14, v37, v93
	v_fmac_f32_e32 v90, v36, v93
	;; [unrolled: 4-line block ×3, first 2 shown]
	v_fma_f32 v38, v38, v76, -v14
	v_mul_f32_e32 v14, v33, v97
	v_fma_f32 v75, v32, v98, -v14
	v_mul_f32_e32 v76, v35, v84
	v_mul_f32_e32 v14, v35, v83
	v_fmac_f32_e32 v76, v34, v83
	v_fma_f32 v34, v34, v84, -v14
	v_mul_f32_e32 v14, v29, v101
	v_fma_f32 v83, v28, v102, -v14
	s_waitcnt lgkmcnt(0)
	v_mul_f32_e32 v14, v31, v103
	v_mul_f32_e32 v23, v17, v100
	;; [unrolled: 1-line block ×3, first 2 shown]
	v_fma_f32 v93, v30, v104, -v14
	v_add_f32_e32 v14, v105, v86
	v_add_f32_e32 v17, v11, v80
	v_mul_f32_e32 v27, v21, v96
	v_fmac_f32_e32 v35, v28, v101
	v_mul_f32_e32 v84, v31, v104
	v_add_f32_e32 v15, v10, v87
	v_add_f32_e32 v18, v12, v85
	;; [unrolled: 1-line block ×4, first 2 shown]
	v_fmac_f32_e32 v27, v20, v95
	v_fmac_f32_e32 v84, v30, v103
	v_add_f32_e32 v20, v77, v79
	v_add_f32_e32 v29, v18, v15
	v_sub_f32_e32 v30, v17, v14
	v_sub_f32_e32 v14, v14, v19
	;; [unrolled: 1-line block ×3, first 2 shown]
	v_add_f32_e32 v19, v19, v28
	v_fmac_f32_e32 v23, v16, v99
	v_mul_f32_e32 v39, v33, v98
	v_sub_f32_e32 v16, v105, v86
	v_sub_f32_e32 v11, v11, v80
	;; [unrolled: 1-line block ×6, first 2 shown]
	v_add_f32_e32 v20, v20, v29
	v_add_f32_e32 v4, v4, v19
	v_fmac_f32_e32 v39, v32, v97
	v_sub_f32_e32 v10, v10, v87
	v_sub_f32_e32 v12, v12, v85
	;; [unrolled: 1-line block ×3, first 2 shown]
	v_add_f32_e32 v32, v13, v11
	v_sub_f32_e32 v77, v13, v11
	v_sub_f32_e32 v11, v11, v16
	v_add_f32_e32 v5, v5, v20
	v_mov_b32_e32 v79, v4
	v_add_f32_e32 v33, v21, v12
	v_sub_f32_e32 v78, v21, v12
	v_sub_f32_e32 v13, v16, v13
	;; [unrolled: 1-line block ×3, first 2 shown]
	v_add_f32_e32 v16, v32, v16
	v_mul_f32_e32 v14, 0x3f4a47b2, v14
	v_mul_f32_e32 v15, 0x3f4a47b2, v15
	;; [unrolled: 1-line block ×6, first 2 shown]
	v_fmac_f32_e32 v79, 0xbf955555, v19
	v_mov_b32_e32 v19, v5
	v_sub_f32_e32 v21, v10, v21
	v_add_f32_e32 v10, v33, v10
	v_mul_f32_e32 v33, 0x3f08b237, v78
	v_mul_f32_e32 v78, 0xbf5ff5aa, v12
	v_fmac_f32_e32 v19, 0xbf955555, v20
	v_fma_f32 v20, v30, s4, -v28
	v_fma_f32 v28, v31, s4, -v29
	v_fma_f32 v29, v30, s3, -v14
	v_fmac_f32_e32 v14, 0x3d64c772, v17
	v_fma_f32 v17, v31, s3, -v15
	v_fmac_f32_e32 v15, 0x3d64c772, v18
	v_fma_f32 v18, v11, s2, -v32
	v_fma_f32 v31, v13, s5, -v77
	v_fmac_f32_e32 v32, 0xbeae86e6, v13
	v_fma_f32 v30, v12, s2, -v33
	v_fmac_f32_e32 v33, 0xbeae86e6, v21
	v_fma_f32 v21, v21, s5, -v78
	v_add_f32_e32 v78, v15, v19
	v_add_f32_e32 v28, v28, v19
	;; [unrolled: 1-line block ×3, first 2 shown]
	v_fmac_f32_e32 v18, 0xbee1c552, v16
	v_fmac_f32_e32 v31, 0xbee1c552, v16
	v_add_f32_e32 v77, v14, v79
	v_add_f32_e32 v20, v20, v79
	v_add_f32_e32 v29, v29, v79
	v_fmac_f32_e32 v32, 0xbee1c552, v16
	v_fmac_f32_e32 v33, 0xbee1c552, v10
	;; [unrolled: 1-line block ×4, first 2 shown]
	v_sub_f32_e32 v13, v19, v31
	v_add_f32_e32 v15, v18, v28
	v_sub_f32_e32 v17, v28, v18
	v_add_f32_e32 v19, v31, v19
	v_add_f32_e32 v28, v88, v82
	;; [unrolled: 1-line block ×4, first 2 shown]
	v_sub_f32_e32 v11, v78, v32
	v_add_f32_e32 v12, v21, v29
	v_sub_f32_e32 v14, v20, v30
	v_add_f32_e32 v16, v30, v20
	v_sub_f32_e32 v18, v29, v21
	v_sub_f32_e32 v20, v77, v33
	v_add_f32_e32 v21, v32, v78
	v_add_f32_e32 v29, v24, v89
	;; [unrolled: 1-line block ×3, first 2 shown]
	v_sub_f32_e32 v23, v25, v23
	v_sub_f32_e32 v25, v26, v81
	v_add_f32_e32 v26, v27, v92
	v_add_f32_e32 v77, v31, v28
	;; [unrolled: 1-line block ×4, first 2 shown]
	v_sub_f32_e32 v79, v31, v28
	v_sub_f32_e32 v28, v28, v26
	;; [unrolled: 1-line block ×3, first 2 shown]
	v_add_f32_e32 v26, v26, v77
	v_sub_f32_e32 v30, v88, v82
	v_sub_f32_e32 v27, v92, v27
	;; [unrolled: 1-line block ×5, first 2 shown]
	v_add_f32_e32 v33, v33, v78
	v_add_f32_e32 v6, v6, v26
	v_sub_f32_e32 v24, v24, v89
	v_sub_f32_e32 v22, v22, v91
	v_add_f32_e32 v81, v27, v23
	v_sub_f32_e32 v85, v27, v23
	v_sub_f32_e32 v23, v23, v30
	v_add_f32_e32 v7, v7, v33
	v_mov_b32_e32 v87, v6
	v_add_f32_e32 v82, v22, v25
	v_sub_f32_e32 v86, v22, v25
	v_sub_f32_e32 v27, v30, v27
	;; [unrolled: 1-line block ×3, first 2 shown]
	v_add_f32_e32 v30, v81, v30
	v_mul_f32_e32 v28, 0x3f4a47b2, v28
	v_mul_f32_e32 v29, 0x3f4a47b2, v29
	;; [unrolled: 1-line block ×6, first 2 shown]
	v_fmac_f32_e32 v87, 0xbf955555, v26
	v_mov_b32_e32 v26, v7
	v_sub_f32_e32 v22, v24, v22
	v_add_f32_e32 v24, v82, v24
	v_mul_f32_e32 v82, 0x3f08b237, v86
	v_mul_f32_e32 v86, 0xbf5ff5aa, v25
	v_fmac_f32_e32 v26, 0xbf955555, v33
	v_fma_f32 v33, v79, s4, -v77
	v_fma_f32 v77, v80, s4, -v78
	v_fma_f32 v78, v79, s3, -v28
	v_fmac_f32_e32 v28, 0x3d64c772, v31
	v_fma_f32 v31, v80, s3, -v29
	v_fma_f32 v80, v27, s5, -v85
	v_fmac_f32_e32 v29, 0x3d64c772, v32
	v_fma_f32 v32, v23, s2, -v81
	v_fmac_f32_e32 v81, 0xbeae86e6, v27
	;; [unrolled: 2-line block ×3, first 2 shown]
	v_fma_f32 v85, v22, s5, -v86
	v_add_f32_e32 v31, v31, v26
	v_fmac_f32_e32 v80, 0xbee1c552, v30
	v_add_f32_e32 v86, v28, v87
	v_add_f32_e32 v88, v29, v26
	;; [unrolled: 1-line block ×5, first 2 shown]
	v_fmac_f32_e32 v81, 0xbee1c552, v30
	v_fmac_f32_e32 v82, 0xbee1c552, v24
	;; [unrolled: 1-line block ×4, first 2 shown]
	v_sub_f32_e32 v25, v31, v80
	v_add_f32_e32 v31, v80, v31
	v_add_f32_e32 v77, v90, v84
	;; [unrolled: 1-line block ×3, first 2 shown]
	v_fmac_f32_e32 v79, 0xbee1c552, v24
	v_add_f32_e32 v22, v82, v86
	v_sub_f32_e32 v23, v88, v81
	v_add_f32_e32 v24, v85, v33
	v_add_f32_e32 v27, v32, v29
	v_sub_f32_e32 v29, v29, v32
	v_sub_f32_e32 v30, v33, v85
	;; [unrolled: 1-line block ×3, first 2 shown]
	v_add_f32_e32 v33, v81, v88
	v_add_f32_e32 v78, v36, v93
	;; [unrolled: 1-line block ×3, first 2 shown]
	v_sub_f32_e32 v35, v37, v35
	v_sub_f32_e32 v37, v38, v83
	v_add_f32_e32 v38, v39, v76
	v_add_f32_e32 v82, v75, v34
	v_sub_f32_e32 v34, v34, v75
	v_add_f32_e32 v75, v80, v77
	v_sub_f32_e32 v39, v76, v39
	v_add_f32_e32 v76, v81, v78
	v_sub_f32_e32 v83, v80, v77
	v_sub_f32_e32 v77, v77, v38
	v_sub_f32_e32 v80, v38, v80
	v_add_f32_e32 v38, v38, v75
	v_add_f32_e32 v75, v82, v76
	;; [unrolled: 1-line block ×3, first 2 shown]
	v_sub_f32_e32 v26, v28, v79
	v_add_f32_e32 v28, v79, v28
	v_sub_f32_e32 v79, v90, v84
	v_sub_f32_e32 v36, v36, v93
	;; [unrolled: 1-line block ×5, first 2 shown]
	v_add_f32_e32 v85, v39, v35
	v_add_f32_e32 v86, v34, v37
	v_sub_f32_e32 v87, v39, v35
	v_sub_f32_e32 v88, v34, v37
	v_add_f32_e32 v9, v9, v75
	v_mov_b32_e32 v89, v8
	v_sub_f32_e32 v39, v79, v39
	v_sub_f32_e32 v34, v36, v34
	v_sub_f32_e32 v35, v35, v79
	v_sub_f32_e32 v37, v37, v36
	v_add_f32_e32 v76, v85, v79
	v_add_f32_e32 v36, v86, v36
	v_mul_f32_e32 v77, 0x3f4a47b2, v77
	v_mul_f32_e32 v78, 0x3f4a47b2, v78
	v_mul_f32_e32 v79, 0x3d64c772, v80
	v_mul_f32_e32 v82, 0x3d64c772, v81
	v_mul_f32_e32 v85, 0x3f08b237, v87
	v_mul_f32_e32 v86, 0x3f08b237, v88
	v_fmac_f32_e32 v89, 0xbf955555, v38
	v_mov_b32_e32 v38, v9
	v_mul_f32_e32 v87, 0xbf5ff5aa, v35
	v_mul_f32_e32 v88, 0xbf5ff5aa, v37
	v_fmac_f32_e32 v38, 0xbf955555, v75
	v_fma_f32 v75, v83, s4, -v79
	v_fma_f32 v79, v84, s4, -v82
	;; [unrolled: 1-line block ×3, first 2 shown]
	v_fmac_f32_e32 v77, 0x3d64c772, v80
	v_fma_f32 v80, v84, s3, -v78
	v_fmac_f32_e32 v78, 0x3d64c772, v81
	v_fma_f32 v81, v35, s2, -v85
	;; [unrolled: 2-line block ×4, first 2 shown]
	v_fma_f32 v87, v34, s5, -v88
	v_add_f32_e32 v88, v77, v89
	v_add_f32_e32 v90, v78, v38
	v_fmac_f32_e32 v85, 0xbee1c552, v76
	v_fmac_f32_e32 v86, 0xbee1c552, v36
	v_add_f32_e32 v75, v75, v89
	v_add_f32_e32 v77, v79, v38
	;; [unrolled: 1-line block ×4, first 2 shown]
	v_fmac_f32_e32 v81, 0xbee1c552, v76
	v_fmac_f32_e32 v83, 0xbee1c552, v36
	;; [unrolled: 1-line block ×4, first 2 shown]
	v_add_f32_e32 v34, v86, v88
	v_sub_f32_e32 v35, v90, v85
	s_barrier
	ds_write2_b64 v153, v[4:5], v[10:11] offset1:224
	ds_write2_b64 v3, v[12:13], v[14:15] offset1:224
	;; [unrolled: 1-line block ×7, first 2 shown]
	v_add_u32_e32 v4, 0x6200, v168
	v_add_f32_e32 v36, v87, v78
	v_sub_f32_e32 v37, v79, v84
	v_sub_f32_e32 v38, v75, v83
	v_add_f32_e32 v39, v81, v77
	ds_write2_b64 v4, v[8:9], v[34:35] offset1:224
	v_add_u32_e32 v4, 0x7000, v168
	v_add_f32_e32 v75, v83, v75
	v_sub_f32_e32 v76, v77, v81
	v_sub_f32_e32 v77, v78, v87
	v_add_f32_e32 v78, v84, v79
	v_sub_f32_e32 v79, v88, v86
	ds_write2_b64 v4, v[36:37], v[38:39] offset1:224
	v_add_u32_e32 v4, 0x7e00, v168
	v_add_f32_e32 v80, v85, v90
	ds_write2_b64 v4, v[75:76], v[77:78] offset1:224
	ds_write_b64 v168, v[79:80] offset:35840
	s_waitcnt lgkmcnt(0)
	s_barrier
	ds_read2_b64 v[4:7], v153 offset1:224
	ds_read2_b64 v[8:11], v73 offset1:224
	;; [unrolled: 1-line block ×10, first 2 shown]
	ds_read_b64 v[77:78], v153 offset:35840
	s_waitcnt lgkmcnt(9)
	v_mul_f32_e32 v79, v45, v11
	v_fmac_f32_e32 v79, v44, v10
	v_mul_f32_e32 v10, v45, v10
	v_fma_f32 v44, v44, v11, -v10
	s_waitcnt lgkmcnt(8)
	v_mul_f32_e32 v10, v47, v12
	v_mul_f32_e32 v45, v47, v13
	v_fma_f32 v13, v46, v13, -v10
	s_waitcnt lgkmcnt(7)
	v_mul_f32_e32 v10, v41, v16
	v_fmac_f32_e32 v45, v46, v12
	v_mul_f32_e32 v46, v41, v17
	v_fma_f32 v17, v40, v17, -v10
	v_mul_f32_e32 v10, v43, v14
	v_fma_f32 v41, v42, v15, -v10
	v_mul_f32_e32 v10, v49, v18
	v_fmac_f32_e32 v46, v40, v16
	v_mul_f32_e32 v40, v43, v15
	v_fma_f32 v43, v48, v19, -v10
	s_waitcnt lgkmcnt(5)
	v_mul_f32_e32 v10, v51, v24
	v_fmac_f32_e32 v40, v42, v14
	v_mul_f32_e32 v42, v49, v19
	v_mul_f32_e32 v47, v51, v25
	v_fma_f32 v25, v50, v25, -v10
	s_waitcnt lgkmcnt(4)
	v_mul_f32_e32 v10, v53, v28
	v_fmac_f32_e32 v42, v48, v18
	v_mul_f32_e32 v48, v53, v29
	v_fma_f32 v29, v52, v29, -v10
	v_mul_f32_e32 v10, v55, v26
	v_fmac_f32_e32 v47, v50, v24
	v_fma_f32 v50, v54, v27, -v10
	v_mul_f32_e32 v10, v57, v30
	v_fmac_f32_e32 v48, v52, v28
	v_fma_f32 v52, v56, v31, -v10
	s_waitcnt lgkmcnt(2)
	v_mul_f32_e32 v10, v59, v36
	v_mul_f32_e32 v53, v59, v37
	v_fma_f32 v37, v58, v37, -v10
	s_waitcnt lgkmcnt(1)
	v_mul_f32_e32 v10, v61, v73
	v_mul_f32_e32 v49, v55, v27
	v_fma_f32 v55, v60, v74, -v10
	v_mul_f32_e32 v10, v63, v38
	v_mul_f32_e32 v51, v57, v31
	v_fma_f32 v57, v62, v39, -v10
	v_mul_f32_e32 v10, v65, v75
	v_fma_f32 v59, v64, v76, -v10
	s_waitcnt lgkmcnt(0)
	v_mul_f32_e32 v10, v67, v77
	v_add_f32_e32 v11, v79, v45
	v_fmac_f32_e32 v49, v54, v26
	v_mul_f32_e32 v54, v61, v74
	v_fma_f32 v61, v66, v78, -v10
	v_add_f32_e32 v10, v4, v79
	v_fma_f32 v4, -0.5, v11, v4
	v_sub_f32_e32 v11, v44, v13
	v_mov_b32_e32 v12, v4
	v_fmac_f32_e32 v12, 0xbf5db3d7, v11
	v_fmac_f32_e32 v4, 0x3f5db3d7, v11
	v_add_f32_e32 v11, v5, v44
	v_add_f32_e32 v11, v11, v13
	v_add_f32_e32 v13, v44, v13
	v_fma_f32 v5, -0.5, v13, v5
	v_sub_f32_e32 v14, v79, v45
	v_mov_b32_e32 v13, v5
	v_add_f32_e32 v15, v46, v40
	v_fmac_f32_e32 v13, 0x3f5db3d7, v14
	v_fmac_f32_e32 v5, 0xbf5db3d7, v14
	v_add_f32_e32 v14, v6, v46
	v_fma_f32 v6, -0.5, v15, v6
	v_sub_f32_e32 v15, v17, v41
	v_mov_b32_e32 v16, v6
	v_fmac_f32_e32 v16, 0xbf5db3d7, v15
	v_fmac_f32_e32 v6, 0x3f5db3d7, v15
	v_add_f32_e32 v15, v7, v17
	v_add_f32_e32 v17, v17, v41
	v_fmac_f32_e32 v7, -0.5, v17
	v_sub_f32_e32 v18, v46, v40
	v_mov_b32_e32 v17, v7
	v_add_f32_e32 v19, v42, v47
	v_fmac_f32_e32 v17, 0x3f5db3d7, v18
	v_fmac_f32_e32 v7, 0xbf5db3d7, v18
	v_add_f32_e32 v18, v20, v42
	v_fma_f32 v20, -0.5, v19, v20
	v_sub_f32_e32 v19, v43, v25
	v_mov_b32_e32 v24, v20
	v_fmac_f32_e32 v24, 0xbf5db3d7, v19
	v_fmac_f32_e32 v20, 0x3f5db3d7, v19
	v_add_f32_e32 v19, v21, v43
	v_add_f32_e32 v19, v19, v25
	;; [unrolled: 1-line block ×3, first 2 shown]
	v_fma_f32 v21, -0.5, v25, v21
	v_sub_f32_e32 v26, v42, v47
	v_mov_b32_e32 v25, v21
	v_add_f32_e32 v27, v48, v49
	v_fmac_f32_e32 v25, 0x3f5db3d7, v26
	v_fmac_f32_e32 v21, 0xbf5db3d7, v26
	v_add_f32_e32 v26, v22, v48
	v_fma_f32 v22, -0.5, v27, v22
	v_sub_f32_e32 v27, v29, v50
	v_mov_b32_e32 v28, v22
	v_fmac_f32_e32 v28, 0xbf5db3d7, v27
	v_fmac_f32_e32 v22, 0x3f5db3d7, v27
	v_add_f32_e32 v27, v23, v29
	v_add_f32_e32 v29, v29, v50
	v_fmac_f32_e32 v51, v56, v30
	v_fmac_f32_e32 v53, v58, v36
	v_fmac_f32_e32 v23, -0.5, v29
	v_sub_f32_e32 v30, v48, v49
	v_mov_b32_e32 v29, v23
	v_add_f32_e32 v31, v51, v53
	v_fmac_f32_e32 v29, 0x3f5db3d7, v30
	v_fmac_f32_e32 v23, 0xbf5db3d7, v30
	v_add_f32_e32 v30, v32, v51
	v_fma_f32 v32, -0.5, v31, v32
	v_sub_f32_e32 v31, v52, v37
	v_mov_b32_e32 v36, v32
	v_fmac_f32_e32 v36, 0xbf5db3d7, v31
	v_fmac_f32_e32 v32, 0x3f5db3d7, v31
	v_add_f32_e32 v31, v33, v52
	v_mul_f32_e32 v56, v63, v39
	v_add_f32_e32 v31, v31, v37
	v_add_f32_e32 v37, v52, v37
	v_fmac_f32_e32 v54, v60, v73
	v_fmac_f32_e32 v56, v62, v38
	v_fma_f32 v33, -0.5, v37, v33
	v_sub_f32_e32 v38, v51, v53
	v_mov_b32_e32 v37, v33
	v_add_f32_e32 v39, v54, v56
	v_fmac_f32_e32 v37, 0x3f5db3d7, v38
	v_fmac_f32_e32 v33, 0xbf5db3d7, v38
	v_add_f32_e32 v38, v34, v54
	v_fma_f32 v34, -0.5, v39, v34
	v_mul_f32_e32 v58, v65, v76
	v_mul_f32_e32 v60, v67, v78
	v_add_f32_e32 v14, v14, v40
	v_add_f32_e32 v15, v15, v41
	v_sub_f32_e32 v39, v55, v57
	v_mov_b32_e32 v40, v34
	v_add_f32_e32 v41, v55, v57
	v_fmac_f32_e32 v58, v64, v75
	v_fmac_f32_e32 v60, v66, v77
	;; [unrolled: 1-line block ×4, first 2 shown]
	v_add_f32_e32 v39, v35, v55
	v_fmac_f32_e32 v35, -0.5, v41
	v_sub_f32_e32 v42, v54, v56
	v_mov_b32_e32 v41, v35
	v_add_f32_e32 v43, v58, v60
	v_fmac_f32_e32 v41, 0x3f5db3d7, v42
	v_fmac_f32_e32 v35, 0xbf5db3d7, v42
	v_add_f32_e32 v42, v8, v58
	v_fma_f32 v8, -0.5, v43, v8
	v_add_f32_e32 v10, v10, v45
	v_sub_f32_e32 v43, v59, v61
	v_mov_b32_e32 v44, v8
	v_add_f32_e32 v45, v59, v61
	v_fmac_f32_e32 v44, 0xbf5db3d7, v43
	v_fmac_f32_e32 v8, 0x3f5db3d7, v43
	v_add_f32_e32 v43, v9, v59
	v_fmac_f32_e32 v9, -0.5, v45
	v_sub_f32_e32 v46, v58, v60
	v_mov_b32_e32 v45, v9
	v_add_f32_e32 v18, v18, v47
	v_add_f32_e32 v26, v26, v49
	;; [unrolled: 1-line block ×8, first 2 shown]
	v_fmac_f32_e32 v45, 0x3f5db3d7, v46
	v_fmac_f32_e32 v9, 0xbf5db3d7, v46
	ds_write_b64 v153, v[12:13] offset:12544
	ds_write_b64 v153, v[4:5] offset:25088
	ds_write2_b64 v153, v[10:11], v[14:15] offset1:224
	ds_write_b64 v153, v[6:7] offset:26880
	ds_write2_b64 v70, v[16:17], v[24:25] offset1:224
	ds_write2_b64 v3, v[18:19], v[26:27] offset1:224
	ds_write2_b64 v72, v[20:21], v[22:23] offset1:224
	ds_write2_b64 v71, v[28:29], v[36:37] offset1:224
	ds_write2_b64 v69, v[30:31], v[38:39] offset1:224
	ds_write2_b64 v68, v[32:33], v[34:35] offset1:224
	ds_write_b64 v153, v[42:43] offset:10752
	ds_write2_b64 v2, v[40:41], v[44:45] offset1:224
	ds_write_b64 v153, v[8:9] offset:35840
	s_waitcnt lgkmcnt(0)
	s_barrier
	ds_read2_b64 v[2:5], v153 offset1:224
	v_mad_u64_u32 v[10:11], s[4:5], s8, v154, 0
	s_mul_hi_u32 s7, s8, 0xfffff0cc
	s_mul_i32 s6, s9, 0xfffff0cc
	s_waitcnt lgkmcnt(0)
	v_mul_f32_e32 v6, v142, v3
	v_fmac_f32_e32 v6, v141, v2
	v_cvt_f64_f32_e32 v[6:7], v6
	v_mad_u64_u32 v[8:9], s[2:3], s11, v134, v[1:2]
	s_mov_b32 s2, 0x899406f7
	s_mov_b32 s3, 0x3f2bdd2b
	v_mul_f64 v[6:7], v[6:7], s[2:3]
	v_mul_f32_e32 v1, v142, v2
	v_fma_f32 v1, v141, v3, -v1
	v_cvt_f64_f32_e32 v[2:3], v1
	v_mov_b32_e32 v1, v8
	v_lshlrev_b64 v[0:1], 3, v[0:1]
	s_sub_i32 s7, s7, s8
	v_mul_f64 v[2:3], v[2:3], s[2:3]
	v_cvt_f32_f64_e32 v12, v[6:7]
	v_mov_b32_e32 v6, v11
	v_mad_u64_u32 v[14:15], s[4:5], s9, v154, v[6:7]
	v_add_u32_e32 v6, 0x1200, v153
	ds_read2_b64 v[6:9], v6 offset0:12 offset1:236
	v_mov_b32_e32 v11, v14
	v_cvt_f32_f64_e32 v13, v[2:3]
	v_mov_b32_e32 v14, s13
	v_add_co_u32_e32 v15, vcc, s12, v0
	s_waitcnt lgkmcnt(0)
	v_mul_f32_e32 v2, v140, v7
	v_fmac_f32_e32 v2, v139, v6
	v_mul_f32_e32 v6, v140, v6
	v_cvt_f64_f32_e32 v[2:3], v2
	v_fma_f32 v6, v139, v7, -v6
	v_cvt_f64_f32_e32 v[6:7], v6
	v_addc_co_u32_e32 v14, vcc, v14, v1, vcc
	v_mul_f64 v[0:1], v[2:3], s[2:3]
	v_mul_f64 v[2:3], v[6:7], s[2:3]
	v_lshlrev_b64 v[6:7], 3, v[10:11]
	s_mul_i32 s4, s9, 0x24c
	v_add_co_u32_e32 v6, vcc, v15, v6
	v_addc_co_u32_e32 v7, vcc, v14, v7, vcc
	v_cvt_f32_f64_e32 v14, v[0:1]
	v_add_u32_e32 v0, 0x2400, v153
	v_cvt_f32_f64_e32 v15, v[2:3]
	ds_read2_b64 v[0:3], v0 offset0:24 offset1:248
	global_store_dwordx2 v[6:7], v[12:13], off
	s_mul_hi_u32 s5, s8, 0x24c
	s_add_i32 s5, s5, s4
	s_mul_i32 s4, s8, 0x24c
	s_waitcnt lgkmcnt(0)
	v_mul_f32_e32 v10, v138, v1
	v_fmac_f32_e32 v10, v137, v0
	v_mul_f32_e32 v0, v138, v0
	v_fma_f32 v0, v137, v1, -v0
	v_cvt_f64_f32_e32 v[0:1], v0
	v_cvt_f64_f32_e32 v[10:11], v10
	s_lshl_b64 s[4:5], s[4:5], 3
	v_mov_b32_e32 v30, s5
	v_mul_f64 v[0:1], v[0:1], s[2:3]
	v_mul_f64 v[16:17], v[10:11], s[2:3]
	v_add_u32_e32 v10, 0x3700, v153
	ds_read2_b64 v[10:13], v10 offset0:4 offset1:228
	v_add_co_u32_e32 v6, vcc, s4, v6
	v_addc_co_u32_e32 v7, vcc, v7, v30, vcc
	v_cvt_f32_f64_e32 v19, v[0:1]
	s_waitcnt lgkmcnt(0)
	v_mul_f32_e32 v0, v136, v11
	v_fmac_f32_e32 v0, v135, v10
	v_mul_f32_e32 v10, v136, v10
	global_store_dwordx2 v[6:7], v[14:15], off
	v_fma_f32 v10, v135, v11, -v10
	v_add_u32_e32 v14, 0x4900, v153
	v_cvt_f32_f64_e32 v18, v[16:17]
	v_cvt_f64_f32_e32 v[0:1], v0
	v_cvt_f64_f32_e32 v[10:11], v10
	ds_read2_b64 v[14:17], v14 offset0:16 offset1:240
	v_add_co_u32_e32 v6, vcc, s4, v6
	v_addc_co_u32_e32 v7, vcc, v7, v30, vcc
	v_mul_f64 v[0:1], v[0:1], s[2:3]
	v_mul_f64 v[10:11], v[10:11], s[2:3]
	global_store_dwordx2 v[6:7], v[18:19], off
	s_waitcnt lgkmcnt(0)
	v_mul_f32_e32 v18, v133, v15
	v_fmac_f32_e32 v18, v132, v14
	v_mul_f32_e32 v14, v133, v14
	v_fma_f32 v14, v132, v15, -v14
	v_cvt_f64_f32_e32 v[18:19], v18
	v_cvt_f64_f32_e32 v[14:15], v14
	v_cvt_f32_f64_e32 v0, v[0:1]
	v_cvt_f32_f64_e32 v1, v[10:11]
	v_mul_f64 v[10:11], v[18:19], s[2:3]
	v_mul_f64 v[14:15], v[14:15], s[2:3]
	v_add_u32_e32 v18, 0x5b00, v153
	ds_read2_b64 v[18:21], v18 offset0:28 offset1:252
	v_add_co_u32_e32 v6, vcc, s4, v6
	v_addc_co_u32_e32 v7, vcc, v7, v30, vcc
	global_store_dwordx2 v[6:7], v[0:1], off
	v_cvt_f32_f64_e32 v0, v[10:11]
	v_cvt_f32_f64_e32 v1, v[14:15]
	s_waitcnt lgkmcnt(0)
	v_mul_f32_e32 v10, v131, v19
	v_mul_f32_e32 v14, v131, v18
	v_fmac_f32_e32 v10, v130, v18
	v_fma_f32 v14, v130, v19, -v14
	v_cvt_f64_f32_e32 v[10:11], v10
	v_cvt_f64_f32_e32 v[14:15], v14
	v_add_u32_e32 v18, 0x6e00, v153
	ds_read2_b64 v[22:25], v18 offset0:8 offset1:232
	v_add_co_u32_e32 v6, vcc, s4, v6
	v_addc_co_u32_e32 v7, vcc, v7, v30, vcc
	global_store_dwordx2 v[6:7], v[0:1], off
	v_mul_f64 v[0:1], v[10:11], s[2:3]
	v_mul_f64 v[10:11], v[14:15], s[2:3]
	s_waitcnt lgkmcnt(0)
	v_mul_f32_e32 v14, v129, v23
	v_mul_f32_e32 v18, v129, v22
	v_fmac_f32_e32 v14, v128, v22
	v_fma_f32 v18, v128, v23, -v18
	v_cvt_f64_f32_e32 v[14:15], v14
	v_cvt_f64_f32_e32 v[18:19], v18
	v_cvt_f32_f64_e32 v0, v[0:1]
	v_cvt_f32_f64_e32 v1, v[10:11]
	v_mul_f64 v[10:11], v[14:15], s[2:3]
	v_mul_f64 v[14:15], v[18:19], s[2:3]
	v_add_u32_e32 v18, 0x8000, v153
	ds_read2_b64 v[26:29], v18 offset0:20 offset1:244
	v_add_co_u32_e32 v6, vcc, s4, v6
	v_addc_co_u32_e32 v7, vcc, v7, v30, vcc
	global_store_dwordx2 v[6:7], v[0:1], off
	v_cvt_f32_f64_e32 v0, v[10:11]
	v_cvt_f32_f64_e32 v1, v[14:15]
	s_waitcnt lgkmcnt(0)
	v_mul_f32_e32 v10, v125, v27
	v_mul_f32_e32 v14, v125, v26
	v_fmac_f32_e32 v10, v124, v26
	v_fma_f32 v14, v124, v27, -v14
	v_cvt_f64_f32_e32 v[10:11], v10
	v_cvt_f64_f32_e32 v[14:15], v14
	v_add_co_u32_e32 v6, vcc, s4, v6
	v_addc_co_u32_e32 v7, vcc, v7, v30, vcc
	global_store_dwordx2 v[6:7], v[0:1], off
	v_mul_f64 v[0:1], v[10:11], s[2:3]
	v_mul_f64 v[10:11], v[14:15], s[2:3]
	v_mul_f32_e32 v14, v127, v5
	v_fmac_f32_e32 v14, v126, v4
	v_mul_f32_e32 v4, v127, v4
	v_fma_f32 v4, v126, v5, -v4
	v_cvt_f64_f32_e32 v[4:5], v4
	v_cvt_f64_f32_e32 v[14:15], v14
	v_cvt_f32_f64_e32 v0, v[0:1]
	v_cvt_f32_f64_e32 v1, v[10:11]
	v_mul_f64 v[4:5], v[4:5], s[2:3]
	v_add_co_u32_e32 v6, vcc, s4, v6
	v_addc_co_u32_e32 v7, vcc, v7, v30, vcc
	global_store_dwordx2 v[6:7], v[0:1], off
	v_mul_f64 v[14:15], v[14:15], s[2:3]
	s_add_i32 s7, s7, s6
	v_cvt_f32_f64_e32 v1, v[4:5]
	v_mul_f32_e32 v4, v123, v9
	v_fmac_f32_e32 v4, v122, v8
	v_cvt_f64_f32_e32 v[4:5], v4
	v_mul_f32_e32 v8, v123, v8
	v_fma_f32 v8, v122, v9, -v8
	v_cvt_f32_f64_e32 v0, v[14:15]
	v_mul_f64 v[4:5], v[4:5], s[2:3]
	v_cvt_f64_f32_e32 v[8:9], v8
	s_mul_i32 s6, s8, 0xfffff0cc
	s_lshl_b64 s[6:7], s[6:7], 3
	v_mov_b32_e32 v10, s7
	v_add_co_u32_e32 v6, vcc, s6, v6
	v_addc_co_u32_e32 v7, vcc, v7, v10, vcc
	v_mul_f64 v[8:9], v[8:9], s[2:3]
	global_store_dwordx2 v[6:7], v[0:1], off
	v_cvt_f32_f64_e32 v0, v[4:5]
	v_mul_f32_e32 v4, v121, v3
	v_fmac_f32_e32 v4, v120, v2
	v_cvt_f64_f32_e32 v[4:5], v4
	v_mul_f32_e32 v2, v121, v2
	v_fma_f32 v2, v120, v3, -v2
	v_cvt_f64_f32_e32 v[2:3], v2
	v_mul_f64 v[4:5], v[4:5], s[2:3]
	v_cvt_f32_f64_e32 v1, v[8:9]
	v_mul_f32_e32 v8, v119, v13
	v_fmac_f32_e32 v8, v118, v12
	v_mul_f64 v[2:3], v[2:3], s[2:3]
	v_cvt_f64_f32_e32 v[8:9], v8
	v_add_co_u32_e32 v6, vcc, s4, v6
	v_addc_co_u32_e32 v7, vcc, v7, v30, vcc
	global_store_dwordx2 v[6:7], v[0:1], off
	v_cvt_f32_f64_e32 v0, v[4:5]
	v_mul_f64 v[4:5], v[8:9], s[2:3]
	v_mul_f32_e32 v10, v119, v12
	v_fma_f32 v10, v118, v13, -v10
	v_cvt_f64_f32_e32 v[10:11], v10
	v_cvt_f32_f64_e32 v1, v[2:3]
	v_add_co_u32_e32 v2, vcc, s4, v6
	v_addc_co_u32_e32 v3, vcc, v7, v30, vcc
	v_mul_f64 v[8:9], v[10:11], s[2:3]
	global_store_dwordx2 v[2:3], v[0:1], off
	v_cvt_f32_f64_e32 v0, v[4:5]
	v_mul_f32_e32 v4, v117, v17
	v_fmac_f32_e32 v4, v116, v16
	v_cvt_f64_f32_e32 v[4:5], v4
	v_mul_f32_e32 v6, v117, v16
	v_fma_f32 v6, v116, v17, -v6
	v_cvt_f64_f32_e32 v[6:7], v6
	v_mul_f64 v[4:5], v[4:5], s[2:3]
	v_cvt_f32_f64_e32 v1, v[8:9]
	v_mul_f32_e32 v8, v115, v21
	v_fmac_f32_e32 v8, v114, v20
	v_mul_f64 v[6:7], v[6:7], s[2:3]
	v_cvt_f64_f32_e32 v[8:9], v8
	v_add_co_u32_e32 v2, vcc, s4, v2
	v_addc_co_u32_e32 v3, vcc, v3, v30, vcc
	global_store_dwordx2 v[2:3], v[0:1], off
	v_cvt_f32_f64_e32 v0, v[4:5]
	v_mul_f64 v[4:5], v[8:9], s[2:3]
	v_mul_f32_e32 v10, v115, v20
	v_fma_f32 v10, v114, v21, -v10
	v_cvt_f64_f32_e32 v[10:11], v10
	v_cvt_f32_f64_e32 v1, v[6:7]
	v_add_co_u32_e32 v2, vcc, s4, v2
	v_addc_co_u32_e32 v3, vcc, v3, v30, vcc
	v_mul_f64 v[8:9], v[10:11], s[2:3]
	global_store_dwordx2 v[2:3], v[0:1], off
	v_cvt_f32_f64_e32 v0, v[4:5]
	v_mul_f32_e32 v4, v113, v25
	v_fmac_f32_e32 v4, v112, v24
	v_cvt_f64_f32_e32 v[4:5], v4
	v_mul_f32_e32 v6, v113, v24
	v_fma_f32 v6, v112, v25, -v6
	v_cvt_f32_f64_e32 v1, v[8:9]
	v_mul_f64 v[4:5], v[4:5], s[2:3]
	v_cvt_f64_f32_e32 v[6:7], v6
	v_mul_f32_e32 v8, v111, v29
	v_mul_f32_e32 v10, v111, v28
	v_fmac_f32_e32 v8, v110, v28
	v_fma_f32 v10, v110, v29, -v10
	v_cvt_f64_f32_e32 v[8:9], v8
	v_cvt_f64_f32_e32 v[10:11], v10
	v_add_co_u32_e32 v2, vcc, s4, v2
	v_mul_f64 v[6:7], v[6:7], s[2:3]
	v_addc_co_u32_e32 v3, vcc, v3, v30, vcc
	global_store_dwordx2 v[2:3], v[0:1], off
	v_cvt_f32_f64_e32 v0, v[4:5]
	v_mul_f64 v[4:5], v[8:9], s[2:3]
	v_mul_f64 v[8:9], v[10:11], s[2:3]
	v_add_co_u32_e32 v2, vcc, s4, v2
	v_cvt_f32_f64_e32 v1, v[6:7]
	v_addc_co_u32_e32 v3, vcc, v3, v30, vcc
	s_movk_i32 s10, 0x7000
	v_cvt_f32_f64_e32 v4, v[4:5]
	v_cvt_f32_f64_e32 v5, v[8:9]
	global_store_dwordx2 v[2:3], v[0:1], off
	v_add_co_u32_e32 v0, vcc, s4, v2
	s_mov_b32 s11, 0x8000
	v_addc_co_u32_e32 v1, vcc, v3, v30, vcc
	global_store_dwordx2 v[0:1], v[4:5], off
	s_and_b64 exec, exec, s[0:1]
	s_cbranch_execz .LBB0_23
; %bb.22:
	global_load_dwordx2 v[2:3], v[108:109], off offset:3584
	ds_read_b64 v[4:5], v153 offset:3584
	ds_read_b64 v[6:7], v153 offset:8288
	;; [unrolled: 1-line block ×4, first 2 shown]
	v_add_co_u32_e32 v0, vcc, s6, v0
	s_movk_i32 s0, 0x2000
	v_mov_b32_e32 v16, s5
	s_waitcnt vmcnt(0) lgkmcnt(3)
	v_mul_f32_e32 v12, v5, v3
	v_mul_f32_e32 v3, v4, v3
	v_fmac_f32_e32 v12, v4, v2
	v_fma_f32 v4, v2, v5, -v3
	v_cvt_f64_f32_e32 v[2:3], v12
	v_cvt_f64_f32_e32 v[4:5], v4
	v_mov_b32_e32 v12, s7
	v_addc_co_u32_e32 v1, vcc, v1, v12, vcc
	v_mul_f64 v[2:3], v[2:3], s[2:3]
	v_mul_f64 v[4:5], v[4:5], s[2:3]
	v_cvt_f32_f64_e32 v2, v[2:3]
	v_cvt_f32_f64_e32 v3, v[4:5]
	v_add_co_u32_e32 v4, vcc, s0, v108
	v_addc_co_u32_e32 v5, vcc, 0, v109, vcc
	global_store_dwordx2 v[0:1], v[2:3], off
	global_load_dwordx2 v[2:3], v[4:5], off offset:96
	s_movk_i32 s0, 0x3000
	s_waitcnt vmcnt(0) lgkmcnt(2)
	v_mul_f32_e32 v4, v7, v3
	v_mul_f32_e32 v3, v6, v3
	v_fmac_f32_e32 v4, v6, v2
	v_fma_f32 v5, v2, v7, -v3
	v_cvt_f64_f32_e32 v[2:3], v4
	v_cvt_f64_f32_e32 v[4:5], v5
	v_add_co_u32_e32 v6, vcc, s0, v108
	v_mul_f64 v[2:3], v[2:3], s[2:3]
	v_mul_f64 v[4:5], v[4:5], s[2:3]
	v_addc_co_u32_e32 v7, vcc, 0, v109, vcc
	v_add_co_u32_e32 v0, vcc, s4, v0
	v_addc_co_u32_e32 v1, vcc, v1, v16, vcc
	v_cvt_f32_f64_e32 v2, v[2:3]
	v_cvt_f32_f64_e32 v3, v[4:5]
	s_movk_i32 s0, 0x4000
	global_store_dwordx2 v[0:1], v[2:3], off
	global_load_dwordx2 v[2:3], v[6:7], off offset:704
	v_add_co_u32_e32 v6, vcc, s0, v108
	v_addc_co_u32_e32 v7, vcc, 0, v109, vcc
	v_add_co_u32_e32 v0, vcc, s4, v0
	v_addc_co_u32_e32 v1, vcc, v1, v16, vcc
	s_movk_i32 s0, 0x5000
	s_waitcnt vmcnt(0) lgkmcnt(1)
	v_mul_f32_e32 v4, v9, v3
	v_mul_f32_e32 v3, v8, v3
	v_fmac_f32_e32 v4, v8, v2
	v_fma_f32 v5, v2, v9, -v3
	v_cvt_f64_f32_e32 v[2:3], v4
	v_cvt_f64_f32_e32 v[4:5], v5
	v_mul_f64 v[2:3], v[2:3], s[2:3]
	v_mul_f64 v[4:5], v[4:5], s[2:3]
	v_cvt_f32_f64_e32 v2, v[2:3]
	v_cvt_f32_f64_e32 v3, v[4:5]
	global_store_dwordx2 v[0:1], v[2:3], off
	global_load_dwordx2 v[2:3], v[6:7], off offset:1312
	ds_read_b64 v[4:5], v153 offset:17696
	ds_read_b64 v[6:7], v153 offset:22400
	;; [unrolled: 1-line block ×4, first 2 shown]
	s_waitcnt vmcnt(0) lgkmcnt(3)
	v_mul_f32_e32 v14, v5, v3
	v_mul_f32_e32 v3, v4, v3
	v_fmac_f32_e32 v14, v4, v2
	v_fma_f32 v4, v2, v5, -v3
	v_cvt_f64_f32_e32 v[2:3], v14
	v_cvt_f64_f32_e32 v[4:5], v4
	v_add_co_u32_e32 v14, vcc, s0, v108
	v_mul_f64 v[2:3], v[2:3], s[2:3]
	v_mul_f64 v[4:5], v[4:5], s[2:3]
	v_addc_co_u32_e32 v15, vcc, 0, v109, vcc
	v_add_co_u32_e32 v0, vcc, s4, v0
	v_addc_co_u32_e32 v1, vcc, v1, v16, vcc
	v_cvt_f32_f64_e32 v2, v[2:3]
	v_cvt_f32_f64_e32 v3, v[4:5]
	s_movk_i32 s0, 0x6000
	global_store_dwordx2 v[0:1], v[2:3], off
	global_load_dwordx2 v[2:3], v[14:15], off offset:1920
	s_waitcnt vmcnt(0) lgkmcnt(2)
	v_mul_f32_e32 v4, v7, v3
	v_mul_f32_e32 v3, v6, v3
	v_fmac_f32_e32 v4, v6, v2
	v_fma_f32 v5, v2, v7, -v3
	v_cvt_f64_f32_e32 v[2:3], v4
	v_cvt_f64_f32_e32 v[4:5], v5
	v_add_co_u32_e32 v6, vcc, s0, v108
	v_mul_f64 v[2:3], v[2:3], s[2:3]
	v_mul_f64 v[4:5], v[4:5], s[2:3]
	v_addc_co_u32_e32 v7, vcc, 0, v109, vcc
	v_add_co_u32_e32 v0, vcc, s4, v0
	v_addc_co_u32_e32 v1, vcc, v1, v16, vcc
	v_cvt_f32_f64_e32 v2, v[2:3]
	v_cvt_f32_f64_e32 v3, v[4:5]
	global_store_dwordx2 v[0:1], v[2:3], off
	global_load_dwordx2 v[2:3], v[6:7], off offset:2528
	v_add_co_u32_e32 v6, vcc, s10, v108
	v_addc_co_u32_e32 v7, vcc, 0, v109, vcc
	v_add_co_u32_e32 v0, vcc, s4, v0
	v_addc_co_u32_e32 v1, vcc, v1, v16, vcc
	s_waitcnt vmcnt(0) lgkmcnt(1)
	v_mul_f32_e32 v4, v9, v3
	v_mul_f32_e32 v3, v8, v3
	v_fmac_f32_e32 v4, v8, v2
	v_fma_f32 v5, v2, v9, -v3
	v_cvt_f64_f32_e32 v[2:3], v4
	v_cvt_f64_f32_e32 v[4:5], v5
	v_mul_f64 v[2:3], v[2:3], s[2:3]
	v_mul_f64 v[4:5], v[4:5], s[2:3]
	v_cvt_f32_f64_e32 v2, v[2:3]
	v_cvt_f32_f64_e32 v3, v[4:5]
	global_store_dwordx2 v[0:1], v[2:3], off
	global_load_dwordx2 v[2:3], v[6:7], off offset:3136
	v_add_co_u32_e32 v6, vcc, s11, v108
	v_addc_co_u32_e32 v7, vcc, 0, v109, vcc
	v_add_co_u32_e32 v0, vcc, s4, v0
	v_addc_co_u32_e32 v1, vcc, v1, v16, vcc
	s_waitcnt vmcnt(0) lgkmcnt(0)
	v_mul_f32_e32 v4, v13, v3
	v_mul_f32_e32 v3, v12, v3
	v_fmac_f32_e32 v4, v12, v2
	v_fma_f32 v5, v2, v13, -v3
	v_cvt_f64_f32_e32 v[2:3], v4
	v_cvt_f64_f32_e32 v[4:5], v5
	v_mul_f64 v[2:3], v[2:3], s[2:3]
	v_mul_f64 v[4:5], v[4:5], s[2:3]
	v_cvt_f32_f64_e32 v2, v[2:3]
	v_cvt_f32_f64_e32 v3, v[4:5]
	global_store_dwordx2 v[0:1], v[2:3], off
	global_load_dwordx2 v[2:3], v[6:7], off offset:3744
	v_add_co_u32_e32 v0, vcc, s4, v0
	v_addc_co_u32_e32 v1, vcc, v1, v16, vcc
	s_waitcnt vmcnt(0)
	v_mul_f32_e32 v4, v11, v3
	v_mul_f32_e32 v3, v10, v3
	v_fmac_f32_e32 v4, v10, v2
	v_fma_f32 v5, v2, v11, -v3
	v_cvt_f64_f32_e32 v[2:3], v4
	v_cvt_f64_f32_e32 v[4:5], v5
	v_mul_f64 v[2:3], v[2:3], s[2:3]
	v_mul_f64 v[4:5], v[4:5], s[2:3]
	v_cvt_f32_f64_e32 v2, v[2:3]
	v_cvt_f32_f64_e32 v3, v[4:5]
	global_store_dwordx2 v[0:1], v[2:3], off
.LBB0_23:
	s_endpgm
	.section	.rodata,"a",@progbits
	.p2align	6, 0x0
	.amdhsa_kernel bluestein_single_fwd_len4704_dim1_sp_op_CI_CI
		.amdhsa_group_segment_fixed_size 37632
		.amdhsa_private_segment_fixed_size 0
		.amdhsa_kernarg_size 104
		.amdhsa_user_sgpr_count 6
		.amdhsa_user_sgpr_private_segment_buffer 1
		.amdhsa_user_sgpr_dispatch_ptr 0
		.amdhsa_user_sgpr_queue_ptr 0
		.amdhsa_user_sgpr_kernarg_segment_ptr 1
		.amdhsa_user_sgpr_dispatch_id 0
		.amdhsa_user_sgpr_flat_scratch_init 0
		.amdhsa_user_sgpr_private_segment_size 0
		.amdhsa_uses_dynamic_stack 0
		.amdhsa_system_sgpr_private_segment_wavefront_offset 0
		.amdhsa_system_sgpr_workgroup_id_x 1
		.amdhsa_system_sgpr_workgroup_id_y 0
		.amdhsa_system_sgpr_workgroup_id_z 0
		.amdhsa_system_sgpr_workgroup_info 0
		.amdhsa_system_vgpr_workitem_id 0
		.amdhsa_next_free_vgpr 200
		.amdhsa_next_free_sgpr 22
		.amdhsa_reserve_vcc 1
		.amdhsa_reserve_flat_scratch 0
		.amdhsa_float_round_mode_32 0
		.amdhsa_float_round_mode_16_64 0
		.amdhsa_float_denorm_mode_32 3
		.amdhsa_float_denorm_mode_16_64 3
		.amdhsa_dx10_clamp 1
		.amdhsa_ieee_mode 1
		.amdhsa_fp16_overflow 0
		.amdhsa_exception_fp_ieee_invalid_op 0
		.amdhsa_exception_fp_denorm_src 0
		.amdhsa_exception_fp_ieee_div_zero 0
		.amdhsa_exception_fp_ieee_overflow 0
		.amdhsa_exception_fp_ieee_underflow 0
		.amdhsa_exception_fp_ieee_inexact 0
		.amdhsa_exception_int_div_zero 0
	.end_amdhsa_kernel
	.text
.Lfunc_end0:
	.size	bluestein_single_fwd_len4704_dim1_sp_op_CI_CI, .Lfunc_end0-bluestein_single_fwd_len4704_dim1_sp_op_CI_CI
                                        ; -- End function
	.section	.AMDGPU.csdata,"",@progbits
; Kernel info:
; codeLenInByte = 21288
; NumSgprs: 26
; NumVgprs: 200
; ScratchSize: 0
; MemoryBound: 0
; FloatMode: 240
; IeeeMode: 1
; LDSByteSize: 37632 bytes/workgroup (compile time only)
; SGPRBlocks: 3
; VGPRBlocks: 49
; NumSGPRsForWavesPerEU: 26
; NumVGPRsForWavesPerEU: 200
; Occupancy: 1
; WaveLimiterHint : 1
; COMPUTE_PGM_RSRC2:SCRATCH_EN: 0
; COMPUTE_PGM_RSRC2:USER_SGPR: 6
; COMPUTE_PGM_RSRC2:TRAP_HANDLER: 0
; COMPUTE_PGM_RSRC2:TGID_X_EN: 1
; COMPUTE_PGM_RSRC2:TGID_Y_EN: 0
; COMPUTE_PGM_RSRC2:TGID_Z_EN: 0
; COMPUTE_PGM_RSRC2:TIDIG_COMP_CNT: 0
	.type	__hip_cuid_5d370680fedf5e2d,@object ; @__hip_cuid_5d370680fedf5e2d
	.section	.bss,"aw",@nobits
	.globl	__hip_cuid_5d370680fedf5e2d
__hip_cuid_5d370680fedf5e2d:
	.byte	0                               ; 0x0
	.size	__hip_cuid_5d370680fedf5e2d, 1

	.ident	"AMD clang version 19.0.0git (https://github.com/RadeonOpenCompute/llvm-project roc-6.4.0 25133 c7fe45cf4b819c5991fe208aaa96edf142730f1d)"
	.section	".note.GNU-stack","",@progbits
	.addrsig
	.addrsig_sym __hip_cuid_5d370680fedf5e2d
	.amdgpu_metadata
---
amdhsa.kernels:
  - .args:
      - .actual_access:  read_only
        .address_space:  global
        .offset:         0
        .size:           8
        .value_kind:     global_buffer
      - .actual_access:  read_only
        .address_space:  global
        .offset:         8
        .size:           8
        .value_kind:     global_buffer
      - .actual_access:  read_only
        .address_space:  global
        .offset:         16
        .size:           8
        .value_kind:     global_buffer
      - .actual_access:  read_only
        .address_space:  global
        .offset:         24
        .size:           8
        .value_kind:     global_buffer
      - .actual_access:  read_only
        .address_space:  global
        .offset:         32
        .size:           8
        .value_kind:     global_buffer
      - .offset:         40
        .size:           8
        .value_kind:     by_value
      - .address_space:  global
        .offset:         48
        .size:           8
        .value_kind:     global_buffer
      - .address_space:  global
        .offset:         56
        .size:           8
        .value_kind:     global_buffer
      - .address_space:  global
        .offset:         64
        .size:           8
        .value_kind:     global_buffer
      - .address_space:  global
        .offset:         72
        .size:           8
        .value_kind:     global_buffer
      - .offset:         80
        .size:           4
        .value_kind:     by_value
      - .address_space:  global
        .offset:         88
        .size:           8
        .value_kind:     global_buffer
      - .address_space:  global
        .offset:         96
        .size:           8
        .value_kind:     global_buffer
    .group_segment_fixed_size: 37632
    .kernarg_segment_align: 8
    .kernarg_segment_size: 104
    .language:       OpenCL C
    .language_version:
      - 2
      - 0
    .max_flat_workgroup_size: 224
    .name:           bluestein_single_fwd_len4704_dim1_sp_op_CI_CI
    .private_segment_fixed_size: 0
    .sgpr_count:     26
    .sgpr_spill_count: 0
    .symbol:         bluestein_single_fwd_len4704_dim1_sp_op_CI_CI.kd
    .uniform_work_group_size: 1
    .uses_dynamic_stack: false
    .vgpr_count:     200
    .vgpr_spill_count: 0
    .wavefront_size: 64
amdhsa.target:   amdgcn-amd-amdhsa--gfx906
amdhsa.version:
  - 1
  - 2
...

	.end_amdgpu_metadata
